;; amdgpu-corpus repo=ROCm/rocFFT kind=compiled arch=gfx1100 opt=O3
	.text
	.amdgcn_target "amdgcn-amd-amdhsa--gfx1100"
	.amdhsa_code_object_version 6
	.protected	fft_rtc_fwd_len884_factors_13_4_17_wgs_204_tpt_68_halfLds_sp_ip_CI_sbrr_dirReg ; -- Begin function fft_rtc_fwd_len884_factors_13_4_17_wgs_204_tpt_68_halfLds_sp_ip_CI_sbrr_dirReg
	.globl	fft_rtc_fwd_len884_factors_13_4_17_wgs_204_tpt_68_halfLds_sp_ip_CI_sbrr_dirReg
	.p2align	8
	.type	fft_rtc_fwd_len884_factors_13_4_17_wgs_204_tpt_68_halfLds_sp_ip_CI_sbrr_dirReg,@function
fft_rtc_fwd_len884_factors_13_4_17_wgs_204_tpt_68_halfLds_sp_ip_CI_sbrr_dirReg: ; @fft_rtc_fwd_len884_factors_13_4_17_wgs_204_tpt_68_halfLds_sp_ip_CI_sbrr_dirReg
; %bb.0:
	s_clause 0x1
	s_load_b64 s[12:13], s[0:1], 0x18
	s_load_b128 s[4:7], s[0:1], 0x0
	v_mul_u32_u24_e32 v1, 0x3c4, v0
	v_mov_b32_e32 v6, 0
	s_load_b64 s[10:11], s[0:1], 0x50
	s_waitcnt lgkmcnt(0)
	s_load_b64 s[8:9], s[12:13], 0x0
	v_lshrrev_b32_e32 v2, 16, v1
	v_mov_b32_e32 v1, 0
	v_cmp_lt_u64_e64 s2, s[6:7], 2
	s_delay_alu instid0(VALU_DEP_3) | instskip(NEXT) | instid1(VALU_DEP_3)
	v_mad_u64_u32 v[4:5], null, s15, 3, v[2:3]
	v_mov_b32_e32 v5, v1
	v_mov_b32_e32 v7, 0
	s_delay_alu instid0(VALU_DEP_4) | instskip(NEXT) | instid1(VALU_DEP_2)
	s_and_b32 vcc_lo, exec_lo, s2
	v_dual_mov_b32 v2, v4 :: v_dual_mov_b32 v3, v5
	s_cbranch_vccnz .LBB0_8
; %bb.1:
	s_load_b64 s[2:3], s[0:1], 0x10
	v_dual_mov_b32 v6, 0 :: v_dual_mov_b32 v9, v5
	s_add_u32 s14, s12, 8
	v_dual_mov_b32 v7, 0 :: v_dual_mov_b32 v8, v4
	s_addc_u32 s15, s13, 0
	s_mov_b64 s[18:19], 1
	s_waitcnt lgkmcnt(0)
	s_add_u32 s16, s2, 8
	s_addc_u32 s17, s3, 0
.LBB0_2:                                ; =>This Inner Loop Header: Depth=1
	s_load_b64 s[20:21], s[16:17], 0x0
	s_waitcnt lgkmcnt(0)
	s_delay_alu instid0(VALU_DEP_1) | instskip(NEXT) | instid1(VALU_DEP_1)
	v_or_b32_e32 v2, s21, v9
	v_cmp_ne_u64_e32 vcc_lo, 0, v[1:2]
                                        ; implicit-def: $vgpr2_vgpr3
	s_and_saveexec_b32 s2, vcc_lo
	s_delay_alu instid0(SALU_CYCLE_1)
	s_xor_b32 s3, exec_lo, s2
	s_cbranch_execz .LBB0_4
; %bb.3:                                ;   in Loop: Header=BB0_2 Depth=1
	v_cvt_f32_u32_e32 v2, s20
	v_cvt_f32_u32_e32 v3, s21
	s_sub_u32 s2, 0, s20
	s_subb_u32 s22, 0, s21
	s_delay_alu instid0(VALU_DEP_1) | instskip(NEXT) | instid1(VALU_DEP_1)
	v_fmac_f32_e32 v2, 0x4f800000, v3
	v_rcp_f32_e32 v2, v2
	s_waitcnt_depctr 0xfff
	v_mul_f32_e32 v2, 0x5f7ffffc, v2
	s_delay_alu instid0(VALU_DEP_1) | instskip(NEXT) | instid1(VALU_DEP_1)
	v_mul_f32_e32 v3, 0x2f800000, v2
	v_trunc_f32_e32 v3, v3
	s_delay_alu instid0(VALU_DEP_1) | instskip(SKIP_1) | instid1(VALU_DEP_2)
	v_fmac_f32_e32 v2, 0xcf800000, v3
	v_cvt_u32_f32_e32 v3, v3
	v_cvt_u32_f32_e32 v2, v2
	s_delay_alu instid0(VALU_DEP_2) | instskip(NEXT) | instid1(VALU_DEP_2)
	v_mul_lo_u32 v5, s2, v3
	v_mul_hi_u32 v10, s2, v2
	v_mul_lo_u32 v11, s22, v2
	s_delay_alu instid0(VALU_DEP_2) | instskip(SKIP_1) | instid1(VALU_DEP_2)
	v_add_nc_u32_e32 v5, v10, v5
	v_mul_lo_u32 v10, s2, v2
	v_add_nc_u32_e32 v5, v5, v11
	s_delay_alu instid0(VALU_DEP_2) | instskip(NEXT) | instid1(VALU_DEP_2)
	v_mul_hi_u32 v11, v2, v10
	v_mul_lo_u32 v12, v2, v5
	v_mul_hi_u32 v13, v2, v5
	v_mul_hi_u32 v14, v3, v10
	v_mul_lo_u32 v10, v3, v10
	v_mul_hi_u32 v15, v3, v5
	v_mul_lo_u32 v5, v3, v5
	v_add_co_u32 v11, vcc_lo, v11, v12
	v_add_co_ci_u32_e32 v12, vcc_lo, 0, v13, vcc_lo
	s_delay_alu instid0(VALU_DEP_2) | instskip(NEXT) | instid1(VALU_DEP_2)
	v_add_co_u32 v10, vcc_lo, v11, v10
	v_add_co_ci_u32_e32 v10, vcc_lo, v12, v14, vcc_lo
	v_add_co_ci_u32_e32 v11, vcc_lo, 0, v15, vcc_lo
	s_delay_alu instid0(VALU_DEP_2) | instskip(NEXT) | instid1(VALU_DEP_2)
	v_add_co_u32 v5, vcc_lo, v10, v5
	v_add_co_ci_u32_e32 v10, vcc_lo, 0, v11, vcc_lo
	s_delay_alu instid0(VALU_DEP_2) | instskip(NEXT) | instid1(VALU_DEP_2)
	v_add_co_u32 v2, vcc_lo, v2, v5
	v_add_co_ci_u32_e32 v3, vcc_lo, v3, v10, vcc_lo
	s_delay_alu instid0(VALU_DEP_2) | instskip(SKIP_1) | instid1(VALU_DEP_3)
	v_mul_hi_u32 v5, s2, v2
	v_mul_lo_u32 v11, s22, v2
	v_mul_lo_u32 v10, s2, v3
	s_delay_alu instid0(VALU_DEP_1) | instskip(SKIP_1) | instid1(VALU_DEP_2)
	v_add_nc_u32_e32 v5, v5, v10
	v_mul_lo_u32 v10, s2, v2
	v_add_nc_u32_e32 v5, v5, v11
	s_delay_alu instid0(VALU_DEP_2) | instskip(NEXT) | instid1(VALU_DEP_2)
	v_mul_hi_u32 v11, v2, v10
	v_mul_lo_u32 v12, v2, v5
	v_mul_hi_u32 v13, v2, v5
	v_mul_hi_u32 v14, v3, v10
	v_mul_lo_u32 v10, v3, v10
	v_mul_hi_u32 v15, v3, v5
	v_mul_lo_u32 v5, v3, v5
	v_add_co_u32 v11, vcc_lo, v11, v12
	v_add_co_ci_u32_e32 v12, vcc_lo, 0, v13, vcc_lo
	s_delay_alu instid0(VALU_DEP_2) | instskip(NEXT) | instid1(VALU_DEP_2)
	v_add_co_u32 v10, vcc_lo, v11, v10
	v_add_co_ci_u32_e32 v10, vcc_lo, v12, v14, vcc_lo
	v_add_co_ci_u32_e32 v11, vcc_lo, 0, v15, vcc_lo
	s_delay_alu instid0(VALU_DEP_2) | instskip(NEXT) | instid1(VALU_DEP_2)
	v_add_co_u32 v5, vcc_lo, v10, v5
	v_add_co_ci_u32_e32 v10, vcc_lo, 0, v11, vcc_lo
	s_delay_alu instid0(VALU_DEP_2) | instskip(NEXT) | instid1(VALU_DEP_2)
	v_add_co_u32 v5, vcc_lo, v2, v5
	v_add_co_ci_u32_e32 v14, vcc_lo, v3, v10, vcc_lo
	s_delay_alu instid0(VALU_DEP_2) | instskip(SKIP_1) | instid1(VALU_DEP_3)
	v_mul_hi_u32 v15, v8, v5
	v_mad_u64_u32 v[10:11], null, v9, v5, 0
	v_mad_u64_u32 v[2:3], null, v8, v14, 0
	;; [unrolled: 1-line block ×3, first 2 shown]
	s_delay_alu instid0(VALU_DEP_2) | instskip(NEXT) | instid1(VALU_DEP_3)
	v_add_co_u32 v2, vcc_lo, v15, v2
	v_add_co_ci_u32_e32 v3, vcc_lo, 0, v3, vcc_lo
	s_delay_alu instid0(VALU_DEP_2) | instskip(NEXT) | instid1(VALU_DEP_2)
	v_add_co_u32 v2, vcc_lo, v2, v10
	v_add_co_ci_u32_e32 v2, vcc_lo, v3, v11, vcc_lo
	v_add_co_ci_u32_e32 v3, vcc_lo, 0, v13, vcc_lo
	s_delay_alu instid0(VALU_DEP_2) | instskip(NEXT) | instid1(VALU_DEP_2)
	v_add_co_u32 v5, vcc_lo, v2, v12
	v_add_co_ci_u32_e32 v10, vcc_lo, 0, v3, vcc_lo
	s_delay_alu instid0(VALU_DEP_2) | instskip(SKIP_1) | instid1(VALU_DEP_3)
	v_mul_lo_u32 v11, s21, v5
	v_mad_u64_u32 v[2:3], null, s20, v5, 0
	v_mul_lo_u32 v12, s20, v10
	s_delay_alu instid0(VALU_DEP_2) | instskip(NEXT) | instid1(VALU_DEP_2)
	v_sub_co_u32 v2, vcc_lo, v8, v2
	v_add3_u32 v3, v3, v12, v11
	s_delay_alu instid0(VALU_DEP_1) | instskip(NEXT) | instid1(VALU_DEP_1)
	v_sub_nc_u32_e32 v11, v9, v3
	v_subrev_co_ci_u32_e64 v11, s2, s21, v11, vcc_lo
	v_add_co_u32 v12, s2, v5, 2
	s_delay_alu instid0(VALU_DEP_1) | instskip(SKIP_3) | instid1(VALU_DEP_3)
	v_add_co_ci_u32_e64 v13, s2, 0, v10, s2
	v_sub_co_u32 v14, s2, v2, s20
	v_sub_co_ci_u32_e32 v3, vcc_lo, v9, v3, vcc_lo
	v_subrev_co_ci_u32_e64 v11, s2, 0, v11, s2
	v_cmp_le_u32_e32 vcc_lo, s20, v14
	s_delay_alu instid0(VALU_DEP_3) | instskip(SKIP_1) | instid1(VALU_DEP_4)
	v_cmp_eq_u32_e64 s2, s21, v3
	v_cndmask_b32_e64 v14, 0, -1, vcc_lo
	v_cmp_le_u32_e32 vcc_lo, s21, v11
	v_cndmask_b32_e64 v15, 0, -1, vcc_lo
	v_cmp_le_u32_e32 vcc_lo, s20, v2
	;; [unrolled: 2-line block ×3, first 2 shown]
	v_cndmask_b32_e64 v16, 0, -1, vcc_lo
	v_cmp_eq_u32_e32 vcc_lo, s21, v11
	s_delay_alu instid0(VALU_DEP_2) | instskip(SKIP_3) | instid1(VALU_DEP_3)
	v_cndmask_b32_e64 v2, v16, v2, s2
	v_cndmask_b32_e32 v11, v15, v14, vcc_lo
	v_add_co_u32 v14, vcc_lo, v5, 1
	v_add_co_ci_u32_e32 v15, vcc_lo, 0, v10, vcc_lo
	v_cmp_ne_u32_e32 vcc_lo, 0, v11
	s_delay_alu instid0(VALU_DEP_2) | instskip(NEXT) | instid1(VALU_DEP_4)
	v_cndmask_b32_e32 v3, v15, v13, vcc_lo
	v_cndmask_b32_e32 v11, v14, v12, vcc_lo
	v_cmp_ne_u32_e32 vcc_lo, 0, v2
	s_delay_alu instid0(VALU_DEP_3) | instskip(NEXT) | instid1(VALU_DEP_3)
	v_cndmask_b32_e32 v3, v10, v3, vcc_lo
	v_cndmask_b32_e32 v2, v5, v11, vcc_lo
.LBB0_4:                                ;   in Loop: Header=BB0_2 Depth=1
	s_and_not1_saveexec_b32 s2, s3
	s_cbranch_execz .LBB0_6
; %bb.5:                                ;   in Loop: Header=BB0_2 Depth=1
	v_cvt_f32_u32_e32 v2, s20
	s_sub_i32 s3, 0, s20
	s_delay_alu instid0(VALU_DEP_1) | instskip(SKIP_2) | instid1(VALU_DEP_1)
	v_rcp_iflag_f32_e32 v2, v2
	s_waitcnt_depctr 0xfff
	v_mul_f32_e32 v2, 0x4f7ffffe, v2
	v_cvt_u32_f32_e32 v2, v2
	s_delay_alu instid0(VALU_DEP_1) | instskip(NEXT) | instid1(VALU_DEP_1)
	v_mul_lo_u32 v3, s3, v2
	v_mul_hi_u32 v3, v2, v3
	s_delay_alu instid0(VALU_DEP_1) | instskip(NEXT) | instid1(VALU_DEP_1)
	v_add_nc_u32_e32 v2, v2, v3
	v_mul_hi_u32 v2, v8, v2
	s_delay_alu instid0(VALU_DEP_1) | instskip(SKIP_1) | instid1(VALU_DEP_2)
	v_mul_lo_u32 v3, v2, s20
	v_add_nc_u32_e32 v5, 1, v2
	v_sub_nc_u32_e32 v3, v8, v3
	s_delay_alu instid0(VALU_DEP_1) | instskip(SKIP_1) | instid1(VALU_DEP_2)
	v_subrev_nc_u32_e32 v10, s20, v3
	v_cmp_le_u32_e32 vcc_lo, s20, v3
	v_dual_cndmask_b32 v3, v3, v10 :: v_dual_cndmask_b32 v2, v2, v5
	s_delay_alu instid0(VALU_DEP_1) | instskip(NEXT) | instid1(VALU_DEP_2)
	v_cmp_le_u32_e32 vcc_lo, s20, v3
	v_add_nc_u32_e32 v5, 1, v2
	s_delay_alu instid0(VALU_DEP_1)
	v_dual_mov_b32 v3, v1 :: v_dual_cndmask_b32 v2, v2, v5
.LBB0_6:                                ;   in Loop: Header=BB0_2 Depth=1
	s_or_b32 exec_lo, exec_lo, s2
	s_load_b64 s[2:3], s[14:15], 0x0
	s_delay_alu instid0(VALU_DEP_1) | instskip(NEXT) | instid1(VALU_DEP_2)
	v_mul_lo_u32 v5, v3, s20
	v_mul_lo_u32 v12, v2, s21
	v_mad_u64_u32 v[10:11], null, v2, s20, 0
	s_add_u32 s18, s18, 1
	s_addc_u32 s19, s19, 0
	s_add_u32 s14, s14, 8
	s_addc_u32 s15, s15, 0
	;; [unrolled: 2-line block ×3, first 2 shown]
	s_delay_alu instid0(VALU_DEP_1) | instskip(SKIP_1) | instid1(VALU_DEP_2)
	v_add3_u32 v5, v11, v12, v5
	v_sub_co_u32 v10, vcc_lo, v8, v10
	v_sub_co_ci_u32_e32 v5, vcc_lo, v9, v5, vcc_lo
	s_waitcnt lgkmcnt(0)
	s_delay_alu instid0(VALU_DEP_2) | instskip(NEXT) | instid1(VALU_DEP_2)
	v_mul_lo_u32 v11, s3, v10
	v_mul_lo_u32 v5, s2, v5
	v_mad_u64_u32 v[8:9], null, s2, v10, v[6:7]
	v_cmp_ge_u64_e64 s2, s[18:19], s[6:7]
	s_delay_alu instid0(VALU_DEP_1) | instskip(NEXT) | instid1(VALU_DEP_2)
	s_and_b32 vcc_lo, exec_lo, s2
	v_add3_u32 v7, v11, v9, v5
	s_delay_alu instid0(VALU_DEP_3)
	v_mov_b32_e32 v6, v8
	s_cbranch_vccnz .LBB0_8
; %bb.7:                                ;   in Loop: Header=BB0_2 Depth=1
	v_dual_mov_b32 v9, v3 :: v_dual_mov_b32 v8, v2
	s_branch .LBB0_2
.LBB0_8:
	s_lshl_b64 s[2:3], s[6:7], 3
	v_mul_hi_u32 v1, 0x3c3c3c4, v0
	s_add_u32 s2, s12, s2
	s_addc_u32 s3, s13, s3
	s_load_b64 s[0:1], s[0:1], 0x20
	s_load_b64 s[2:3], s[2:3], 0x0
	s_delay_alu instid0(VALU_DEP_1) | instskip(NEXT) | instid1(VALU_DEP_1)
	v_mul_u32_u24_e32 v1, 0x44, v1
	v_sub_nc_u32_e32 v40, v0, v1
	s_delay_alu instid0(VALU_DEP_1)
	v_add_nc_u32_e32 v42, 0x44, v40
	v_add_nc_u32_e32 v15, 0x88, v40
	;; [unrolled: 1-line block ×3, first 2 shown]
	s_waitcnt lgkmcnt(0)
	v_cmp_gt_u64_e32 vcc_lo, s[0:1], v[2:3]
	v_mul_lo_u32 v5, s2, v3
	v_mul_lo_u32 v8, s3, v2
	v_mad_u64_u32 v[0:1], null, s2, v2, v[6:7]
	v_cmp_le_u64_e64 s0, s[0:1], v[2:3]
                                        ; implicit-def: $sgpr2_sgpr3
	s_delay_alu instid0(VALU_DEP_2) | instskip(NEXT) | instid1(VALU_DEP_2)
	v_add3_u32 v1, v8, v1, v5
	s_and_saveexec_b32 s1, s0
	s_delay_alu instid0(SALU_CYCLE_1)
	s_xor_b32 s0, exec_lo, s1
; %bb.9:
	v_add_nc_u32_e32 v42, 0x44, v40
	v_add_nc_u32_e32 v15, 0x88, v40
	;; [unrolled: 1-line block ×3, first 2 shown]
	s_mov_b64 s[2:3], 0
; %bb.10:
	s_or_saveexec_b32 s1, s0
	v_lshlrev_b64 v[16:17], 3, v[0:1]
	v_dual_mov_b32 v8, s3 :: v_dual_mov_b32 v7, s2
                                        ; implicit-def: $vgpr29
                                        ; implicit-def: $vgpr27
                                        ; implicit-def: $vgpr10
                                        ; implicit-def: $vgpr14
                                        ; implicit-def: $vgpr6
                                        ; implicit-def: $vgpr1
                                        ; implicit-def: $vgpr3
                                        ; implicit-def: $vgpr12
                                        ; implicit-def: $vgpr25
                                        ; implicit-def: $vgpr31
                                        ; implicit-def: $vgpr37
                                        ; implicit-def: $vgpr39
	s_xor_b32 exec_lo, exec_lo, s1
	s_cbranch_execz .LBB0_12
; %bb.11:
	v_mad_u64_u32 v[0:1], null, s8, v40, 0
	v_mad_u64_u32 v[2:3], null, s8, v42, 0
	;; [unrolled: 1-line block ×4, first 2 shown]
	v_add_co_u32 v38, s0, s10, v16
	s_delay_alu instid0(VALU_DEP_4) | instskip(SKIP_3) | instid1(VALU_DEP_4)
	v_mad_u64_u32 v[9:10], null, s9, v40, v[1:2]
	v_mad_u64_u32 v[10:11], null, s9, v42, v[3:4]
	v_dual_mov_b32 v3, v6 :: v_dual_add_nc_u32 v14, 0x110, v40
	v_mov_b32_e32 v6, v8
	v_dual_mov_b32 v1, v9 :: v_dual_add_nc_u32 v22, 0x154, v40
	s_delay_alu instid0(VALU_DEP_3) | instskip(SKIP_1) | instid1(VALU_DEP_4)
	v_mad_u64_u32 v[8:9], null, s9, v15, v[3:4]
	v_mov_b32_e32 v3, v10
	v_mad_u64_u32 v[9:10], null, s9, v41, v[6:7]
	v_mad_u64_u32 v[11:12], null, s8, v14, 0
	v_lshlrev_b64 v[0:1], 3, v[0:1]
	v_mov_b32_e32 v6, v8
	v_add_co_ci_u32_e64 v39, s0, s11, v17, s0
	v_mov_b32_e32 v8, v9
	v_lshlrev_b64 v[2:3], 3, v[2:3]
	v_mov_b32_e32 v9, v12
	v_add_co_u32 v0, s0, v38, v0
	v_lshlrev_b64 v[5:6], 3, v[5:6]
	v_add_nc_u32_e32 v23, 0x198, v40
	s_delay_alu instid0(VALU_DEP_4)
	v_mad_u64_u32 v[12:13], null, s9, v14, v[9:10]
	v_mad_u64_u32 v[13:14], null, s8, v22, 0
	v_add_co_ci_u32_e64 v1, s0, v39, v1, s0
	v_add_co_u32 v2, s0, v38, v2
	v_lshlrev_b64 v[7:8], 3, v[7:8]
	v_add_co_ci_u32_e64 v3, s0, v39, v3, s0
	v_add_co_u32 v5, s0, v38, v5
	v_mad_u64_u32 v[18:19], null, s8, v23, 0
	v_add_co_ci_u32_e64 v6, s0, v39, v6, s0
	v_add_co_u32 v9, s0, v38, v7
	v_mov_b32_e32 v7, v14
	v_add_co_ci_u32_e64 v10, s0, v39, v8, s0
	v_add_nc_u32_e32 v25, 0x264, v40
	v_add_nc_u32_e32 v37, 0x2ec, v40
	s_delay_alu instid0(VALU_DEP_4)
	v_mad_u64_u32 v[20:21], null, s9, v22, v[7:8]
	s_clause 0x3
	global_load_b64 v[7:8], v[0:1], off
	global_load_b64 v[28:29], v[2:3], off
	;; [unrolled: 1-line block ×4, first 2 shown]
	v_mov_b32_e32 v2, v19
	v_lshlrev_b64 v[0:1], 3, v[11:12]
	v_add_nc_u32_e32 v43, 0x330, v40
	v_add_nc_u32_e32 v33, 0x2a8, v40
	s_delay_alu instid0(VALU_DEP_4) | instskip(SKIP_3) | instid1(VALU_DEP_1)
	v_mad_u64_u32 v[11:12], null, s9, v23, v[2:3]
	v_add_nc_u32_e32 v22, 0x1dc, v40
	v_mov_b32_e32 v14, v20
	v_add_co_u32 v0, s0, v38, v0
	v_add_co_ci_u32_e64 v1, s0, v39, v1, s0
	v_mov_b32_e32 v19, v11
	v_mad_u64_u32 v[5:6], null, s8, v22, 0
	v_lshlrev_b64 v[12:13], 3, v[13:14]
	v_add_nc_u32_e32 v14, 0x220, v40
	s_delay_alu instid0(VALU_DEP_3) | instskip(NEXT) | instid1(VALU_DEP_1)
	v_mov_b32_e32 v2, v6
	v_mad_u64_u32 v[20:21], null, s9, v22, v[2:3]
	s_delay_alu instid0(VALU_DEP_3) | instskip(SKIP_1) | instid1(VALU_DEP_1)
	v_mad_u64_u32 v[21:22], null, s8, v14, 0
	v_add_co_u32 v2, s0, v38, v12
	v_add_co_ci_u32_e64 v3, s0, v39, v13, s0
	v_lshlrev_b64 v[11:12], 3, v[18:19]
	v_mad_u64_u32 v[18:19], null, s8, v25, 0
	v_dual_mov_b32 v13, v22 :: v_dual_mov_b32 v6, v20
	s_delay_alu instid0(VALU_DEP_3) | instskip(NEXT) | instid1(VALU_DEP_2)
	v_add_co_u32 v11, s0, v38, v11
	v_mad_u64_u32 v[22:23], null, s9, v14, v[13:14]
	s_delay_alu instid0(VALU_DEP_4) | instskip(SKIP_3) | instid1(VALU_DEP_4)
	v_mov_b32_e32 v13, v19
	v_mad_u64_u32 v[23:24], null, s8, v33, 0
	v_lshlrev_b64 v[5:6], 3, v[5:6]
	v_add_co_ci_u32_e64 v12, s0, v39, v12, s0
	v_mad_u64_u32 v[30:31], null, s9, v25, v[13:14]
	v_mad_u64_u32 v[31:32], null, s8, v37, 0
	s_delay_alu instid0(VALU_DEP_4) | instskip(SKIP_2) | instid1(VALU_DEP_2)
	v_add_co_u32 v19, s0, v38, v5
	v_mov_b32_e32 v5, v24
	v_add_co_ci_u32_e64 v20, s0, v39, v6, s0
	v_mad_u64_u32 v[24:25], null, s9, v33, v[5:6]
	v_mad_u64_u32 v[33:34], null, s8, v43, 0
	s_clause 0x3
	global_load_b64 v[13:14], v[0:1], off
	global_load_b64 v[5:6], v[2:3], off
	;; [unrolled: 1-line block ×4, first 2 shown]
	v_mov_b32_e32 v11, v32
	v_mov_b32_e32 v19, v30
	v_lshlrev_b64 v[20:21], 3, v[21:22]
	s_delay_alu instid0(VALU_DEP_3) | instskip(SKIP_1) | instid1(VALU_DEP_4)
	v_mad_u64_u32 v[35:36], null, s9, v37, v[11:12]
	v_mov_b32_e32 v11, v34
	v_lshlrev_b64 v[18:19], 3, v[18:19]
	s_delay_alu instid0(VALU_DEP_4) | instskip(NEXT) | instid1(VALU_DEP_1)
	v_add_co_u32 v20, s0, v38, v20
	v_add_co_ci_u32_e64 v21, s0, v39, v21, s0
	s_delay_alu instid0(VALU_DEP_4) | instskip(SKIP_3) | instid1(VALU_DEP_1)
	v_mad_u64_u32 v[36:37], null, s9, v43, v[11:12]
	v_lshlrev_b64 v[11:12], 3, v[23:24]
	v_mov_b32_e32 v32, v35
	v_add_co_u32 v18, s0, v38, v18
	v_add_co_ci_u32_e64 v19, s0, v39, v19, s0
	v_mov_b32_e32 v34, v36
	s_delay_alu instid0(VALU_DEP_4) | instskip(SKIP_1) | instid1(VALU_DEP_1)
	v_lshlrev_b64 v[22:23], 3, v[31:32]
	v_add_co_u32 v30, s0, v38, v11
	v_add_co_ci_u32_e64 v31, s0, v39, v12, s0
	s_delay_alu instid0(VALU_DEP_4) | instskip(NEXT) | instid1(VALU_DEP_4)
	v_lshlrev_b64 v[11:12], 3, v[33:34]
	v_add_co_u32 v22, s0, v38, v22
	s_delay_alu instid0(VALU_DEP_1) | instskip(NEXT) | instid1(VALU_DEP_3)
	v_add_co_ci_u32_e64 v23, s0, v39, v23, s0
	v_add_co_u32 v32, s0, v38, v11
	s_delay_alu instid0(VALU_DEP_1)
	v_add_co_ci_u32_e64 v33, s0, v39, v12, s0
	s_clause 0x4
	global_load_b64 v[11:12], v[20:21], off
	global_load_b64 v[24:25], v[18:19], off
	;; [unrolled: 1-line block ×5, first 2 shown]
.LBB0_12:
	s_or_b32 exec_lo, exec_lo, s1
	s_waitcnt vmcnt(0)
	v_dual_add_f32 v18, v28, v7 :: v_dual_sub_f32 v21, v29, v37
	v_dual_add_f32 v20, v28, v36 :: v_dual_sub_f32 v23, v27, v39
	v_add_f32_e32 v22, v26, v38
	s_delay_alu instid0(VALU_DEP_3) | instskip(SKIP_1) | instid1(VALU_DEP_4)
	v_add_f32_e32 v18, v26, v18
	v_mul_hi_u32 v19, 0xaaaaaaab, v4
	v_mul_f32_e32 v35, 0xbeb58ec6, v20
	v_mul_f32_e32 v33, 0x3f116cb1, v20
	v_cmp_gt_u32_e64 s0, 17, v40
	v_dual_add_f32 v18, v9, v18 :: v_dual_mul_f32 v43, 0xbf3f9e67, v20
	s_delay_alu instid0(VALU_DEP_4) | instskip(NEXT) | instid1(VALU_DEP_4)
	v_fmamk_f32 v49, v21, 0x3f6f5d39, v35
	v_fmamk_f32 v47, v21, 0x3f52af12, v33
	v_lshrrev_b32_e32 v19, 1, v19
	s_delay_alu instid0(VALU_DEP_4) | instskip(SKIP_2) | instid1(VALU_DEP_4)
	v_dual_add_f32 v18, v13, v18 :: v_dual_fmac_f32 v33, 0xbf52af12, v21
	v_mul_f32_e32 v34, 0x3df6dbef, v20
	v_fmamk_f32 v50, v21, 0x3f29c268, v43
	v_lshl_add_u32 v19, v19, 1, v19
	s_delay_alu instid0(VALU_DEP_4) | instskip(SKIP_1) | instid1(VALU_DEP_3)
	v_dual_add_f32 v18, v5, v18 :: v_dual_fmac_f32 v35, 0xbf6f5d39, v21
	v_dual_mul_f32 v44, 0x3f116cb1, v22 :: v_dual_add_f32 v33, v33, v7
	v_sub_nc_u32_e32 v4, v4, v19
	s_delay_alu instid0(VALU_DEP_3) | instskip(SKIP_2) | instid1(VALU_DEP_3)
	v_dual_add_f32 v18, v0, v18 :: v_dual_add_f32 v35, v35, v7
	v_dual_mul_f32 v32, 0x3f62ad3f, v20 :: v_dual_add_f32 v47, v47, v7
	v_lshlrev_b32_e32 v56, 2, v41
	v_add_f32_e32 v18, v2, v18
	v_dual_mul_f32 v20, 0xbf788fa5, v20 :: v_dual_add_f32 v49, v49, v7
	s_delay_alu instid0(VALU_DEP_2) | instskip(SKIP_1) | instid1(VALU_DEP_3)
	v_dual_fmac_f32 v43, 0xbf29c268, v21 :: v_dual_add_f32 v18, v11, v18
	v_fmamk_f32 v46, v21, 0x3eedf032, v32
	v_fmamk_f32 v51, v21, 0x3e750f2a, v20
	v_fmac_f32_e32 v32, 0xbeedf032, v21
	v_fmac_f32_e32 v20, 0xbe750f2a, v21
	v_fmamk_f32 v48, v21, 0x3f7e222b, v34
	v_fmac_f32_e32 v34, 0xbf7e222b, v21
	v_dual_fmamk_f32 v21, v23, 0x3f52af12, v44 :: v_dual_add_f32 v18, v24, v18
	v_add_f32_e32 v43, v43, v7
	v_dual_mul_f32 v45, 0xbeb58ec6, v22 :: v_dual_add_f32 v46, v46, v7
	v_add_f32_e32 v19, v51, v7
	v_add_f32_e32 v32, v32, v7
	;; [unrolled: 1-line block ×3, first 2 shown]
	v_mul_u32_u24_e32 v51, 0x374, v4
	v_fmamk_f32 v4, v23, 0x3f6f5d39, v45
	v_fmac_f32_e32 v45, 0xbf6f5d39, v23
	v_fmac_f32_e32 v44, 0xbf52af12, v23
	s_delay_alu instid0(VALU_DEP_2) | instskip(NEXT) | instid1(VALU_DEP_2)
	v_dual_add_f32 v48, v48, v7 :: v_dual_add_f32 v33, v45, v33
	v_add_f32_e32 v32, v44, v32
	v_mul_f32_e32 v44, 0xbf3f9e67, v22
	s_delay_alu instid0(VALU_DEP_1) | instskip(SKIP_1) | instid1(VALU_DEP_1)
	v_dual_add_f32 v50, v50, v7 :: v_dual_fmamk_f32 v45, v23, 0xbf29c268, v44
	v_fmac_f32_e32 v44, 0x3f29c268, v23
	v_add_f32_e32 v35, v44, v35
	v_add_f32_e32 v34, v34, v7
	v_dual_add_f32 v7, v20, v7 :: v_dual_add_f32 v44, v9, v30
	v_dual_add_f32 v4, v4, v47 :: v_dual_mul_f32 v47, 0x3df6dbef, v22
	v_add_f32_e32 v20, v21, v46
	v_mul_f32_e32 v21, 0xbf788fa5, v22
	v_add_f32_e32 v18, v38, v18
	v_mul_f32_e32 v22, 0x3f62ad3f, v22
	s_delay_alu instid0(VALU_DEP_3) | instskip(SKIP_1) | instid1(VALU_DEP_1)
	v_fmamk_f32 v46, v23, 0x3e750f2a, v21
	v_fmac_f32_e32 v21, 0xbe750f2a, v23
	v_add_f32_e32 v21, v21, v34
	v_dual_add_f32 v34, v45, v49 :: v_dual_fmamk_f32 v45, v23, 0xbf7e222b, v47
	v_dual_add_f32 v18, v36, v18 :: v_dual_mul_f32 v49, 0x3df6dbef, v44
	v_fmac_f32_e32 v47, 0x3f7e222b, v23
	s_delay_alu instid0(VALU_DEP_3) | instskip(SKIP_1) | instid1(VALU_DEP_3)
	v_dual_add_f32 v45, v45, v50 :: v_dual_fmamk_f32 v50, v23, 0xbeedf032, v22
	v_fmac_f32_e32 v22, 0x3eedf032, v23
	v_add_f32_e32 v23, v47, v43
	v_mul_f32_e32 v47, 0xbf788fa5, v44
	s_delay_alu instid0(VALU_DEP_3) | instskip(SKIP_2) | instid1(VALU_DEP_1)
	v_add_f32_e32 v7, v22, v7
	v_add_f32_e32 v46, v46, v48
	v_sub_f32_e32 v48, v10, v31
	v_fmamk_f32 v43, v48, 0x3f7e222b, v49
	v_fmamk_f32 v22, v48, 0x3e750f2a, v47
	v_fmac_f32_e32 v47, 0xbe750f2a, v48
	s_delay_alu instid0(VALU_DEP_3) | instskip(SKIP_2) | instid1(VALU_DEP_4)
	v_add_f32_e32 v20, v43, v20
	v_mul_f32_e32 v43, 0xbeb58ec6, v44
	v_fmac_f32_e32 v49, 0xbf7e222b, v48
	v_dual_add_f32 v4, v22, v4 :: v_dual_add_f32 v33, v47, v33
	s_delay_alu instid0(VALU_DEP_3) | instskip(SKIP_1) | instid1(VALU_DEP_1)
	v_fmamk_f32 v22, v48, 0xbf6f5d39, v43
	v_fmac_f32_e32 v43, 0x3f6f5d39, v48
	v_add_f32_e32 v21, v43, v21
	s_delay_alu instid0(VALU_DEP_3) | instskip(SKIP_4) | instid1(VALU_DEP_2)
	v_dual_add_f32 v43, v13, v24 :: v_dual_add_f32 v22, v22, v46
	v_mul_f32_e32 v46, 0x3f116cb1, v44
	v_add_f32_e32 v32, v49, v32
	v_mul_f32_e32 v49, 0x3f62ad3f, v44
	v_mul_f32_e32 v44, 0xbf3f9e67, v44
	v_fmamk_f32 v47, v48, 0xbeedf032, v49
	v_fmac_f32_e32 v49, 0x3eedf032, v48
	s_delay_alu instid0(VALU_DEP_2) | instskip(NEXT) | instid1(VALU_DEP_2)
	v_dual_add_f32 v19, v50, v19 :: v_dual_add_f32 v34, v47, v34
	v_add_f32_e32 v35, v49, v35
	v_sub_f32_e32 v49, v14, v25
	v_fmamk_f32 v47, v48, 0x3f52af12, v46
	s_delay_alu instid0(VALU_DEP_1) | instskip(NEXT) | instid1(VALU_DEP_1)
	v_dual_fmac_f32 v46, 0xbf52af12, v48 :: v_dual_add_f32 v45, v47, v45
	v_add_f32_e32 v23, v46, v23
	v_fmamk_f32 v47, v48, 0x3f29c268, v44
	v_fmac_f32_e32 v44, 0xbf29c268, v48
	v_mul_f32_e32 v48, 0xbf3f9e67, v43
	s_delay_alu instid0(VALU_DEP_3) | instskip(NEXT) | instid1(VALU_DEP_2)
	v_add_f32_e32 v19, v47, v19
	v_dual_add_f32 v7, v44, v7 :: v_dual_fmamk_f32 v44, v49, 0xbf29c268, v48
	v_fmac_f32_e32 v48, 0x3f29c268, v49
	v_mul_f32_e32 v50, 0xbeb58ec6, v43
	s_delay_alu instid0(VALU_DEP_3) | instskip(NEXT) | instid1(VALU_DEP_1)
	v_dual_mul_f32 v47, 0x3df6dbef, v43 :: v_dual_add_f32 v4, v44, v4
	v_dual_add_f32 v33, v48, v33 :: v_dual_fmamk_f32 v48, v49, 0x3f7e222b, v47
	v_fmac_f32_e32 v47, 0xbf7e222b, v49
	s_delay_alu instid0(VALU_DEP_1) | instskip(NEXT) | instid1(VALU_DEP_1)
	v_dual_fmamk_f32 v46, v49, 0x3f6f5d39, v50 :: v_dual_add_f32 v35, v47, v35
	v_add_f32_e32 v20, v46, v20
	v_mul_f32_e32 v46, 0x3f62ad3f, v43
	s_delay_alu instid0(VALU_DEP_1) | instskip(SKIP_1) | instid1(VALU_DEP_1)
	v_fmamk_f32 v44, v49, 0xbeedf032, v46
	v_fmac_f32_e32 v46, 0x3eedf032, v49
	v_dual_add_f32 v22, v44, v22 :: v_dual_add_f32 v21, v46, v21
	v_add_f32_e32 v46, v5, v11
	v_mul_f32_e32 v44, 0xbf788fa5, v43
	v_add_f32_e32 v34, v48, v34
	v_dual_sub_f32 v48, v6, v12 :: v_dual_mul_f32 v43, 0x3f116cb1, v43
	s_delay_alu instid0(VALU_DEP_3) | instskip(SKIP_2) | instid1(VALU_DEP_3)
	v_fmamk_f32 v47, v49, 0xbe750f2a, v44
	v_fmac_f32_e32 v44, 0x3e750f2a, v49
	v_fmac_f32_e32 v50, 0xbf6f5d39, v49
	v_add_f32_e32 v45, v47, v45
	s_delay_alu instid0(VALU_DEP_2)
	v_dual_add_f32 v23, v44, v23 :: v_dual_add_f32 v32, v50, v32
	v_fmamk_f32 v52, v49, 0xbf52af12, v43
	v_fmac_f32_e32 v43, 0x3f52af12, v49
	v_mul_f32_e32 v50, 0xbf3f9e67, v46
	v_mul_f32_e32 v47, 0x3df6dbef, v46
	;; [unrolled: 1-line block ×3, first 2 shown]
	s_delay_alu instid0(VALU_DEP_3) | instskip(NEXT) | instid1(VALU_DEP_1)
	v_dual_add_f32 v7, v43, v7 :: v_dual_fmamk_f32 v44, v48, 0x3f29c268, v50
	v_dual_mul_f32 v43, 0x3f116cb1, v46 :: v_dual_add_f32 v20, v44, v20
	s_delay_alu instid0(VALU_DEP_4) | instskip(NEXT) | instid1(VALU_DEP_1)
	v_fmamk_f32 v44, v48, 0xbf7e222b, v47
	v_add_f32_e32 v4, v44, v4
	v_fmamk_f32 v44, v48, 0xbe750f2a, v49
	s_delay_alu instid0(VALU_DEP_1) | instskip(NEXT) | instid1(VALU_DEP_1)
	v_dual_fmac_f32 v49, 0x3e750f2a, v48 :: v_dual_add_f32 v34, v44, v34
	v_dual_mul_f32 v44, 0xbeb58ec6, v46 :: v_dual_add_f32 v35, v49, v35
	s_delay_alu instid0(VALU_DEP_1) | instskip(SKIP_1) | instid1(VALU_DEP_1)
	v_fmamk_f32 v49, v48, 0x3f6f5d39, v44
	v_fmac_f32_e32 v44, 0xbf6f5d39, v48
	v_dual_fmac_f32 v50, 0xbf29c268, v48 :: v_dual_add_f32 v7, v44, v7
	s_delay_alu instid0(VALU_DEP_1) | instskip(SKIP_2) | instid1(VALU_DEP_2)
	v_add_f32_e32 v32, v50, v32
	v_fmamk_f32 v50, v48, 0x3f52af12, v43
	v_fmac_f32_e32 v43, 0xbf52af12, v48
	v_dual_fmac_f32 v47, 0x3f7e222b, v48 :: v_dual_add_f32 v22, v50, v22
	s_delay_alu instid0(VALU_DEP_2) | instskip(SKIP_1) | instid1(VALU_DEP_3)
	v_dual_sub_f32 v50, v1, v3 :: v_dual_add_f32 v21, v43, v21
	v_mul_f32_e32 v43, 0x3f62ad3f, v46
	v_add_f32_e32 v33, v47, v33
	v_add_f32_e32 v47, v0, v2
	s_delay_alu instid0(VALU_DEP_3) | instskip(SKIP_1) | instid1(VALU_DEP_3)
	v_fmamk_f32 v46, v48, 0xbeedf032, v43
	v_fmac_f32_e32 v43, 0x3eedf032, v48
	v_mul_f32_e32 v48, 0x3f62ad3f, v47
	v_mul_f32_e32 v44, 0xbf3f9e67, v47
	s_delay_alu instid0(VALU_DEP_3) | instskip(SKIP_2) | instid1(VALU_DEP_1)
	v_add_f32_e32 v23, v43, v23
	v_add_f32_e32 v19, v52, v19
	v_mul_f32_e32 v52, 0xbf788fa5, v47
	v_fmamk_f32 v43, v50, 0x3e750f2a, v52
	v_fmac_f32_e32 v52, 0xbe750f2a, v50
	s_delay_alu instid0(VALU_DEP_2) | instskip(NEXT) | instid1(VALU_DEP_2)
	v_dual_add_f32 v20, v43, v20 :: v_dual_fmamk_f32 v43, v50, 0xbeedf032, v48
	v_dual_add_f32 v45, v46, v45 :: v_dual_add_f32 v46, v52, v32
	v_fmamk_f32 v32, v50, 0x3f29c268, v44
	v_dual_fmac_f32 v44, 0xbf29c268, v50 :: v_dual_add_f32 v19, v49, v19
	v_mul_f32_e32 v49, 0x3f116cb1, v47
	s_delay_alu instid0(VALU_DEP_3) | instskip(NEXT) | instid1(VALU_DEP_3)
	v_dual_add_f32 v43, v43, v4 :: v_dual_add_f32 v22, v32, v22
	v_dual_mul_f32 v32, 0xbeb58ec6, v47 :: v_dual_add_f32 v21, v44, v21
	v_mul_f32_e32 v44, 0x3df6dbef, v47
	s_delay_alu instid0(VALU_DEP_4) | instskip(SKIP_1) | instid1(VALU_DEP_4)
	v_fmamk_f32 v4, v50, 0xbf52af12, v49
	v_fmac_f32_e32 v49, 0x3f52af12, v50
	v_fmamk_f32 v47, v50, 0x3f6f5d39, v32
	v_fmac_f32_e32 v32, 0xbf6f5d39, v50
	v_fmac_f32_e32 v48, 0x3eedf032, v50
	s_delay_alu instid0(VALU_DEP_4) | instskip(SKIP_1) | instid1(VALU_DEP_4)
	v_dual_add_f32 v34, v4, v34 :: v_dual_add_f32 v35, v49, v35
	v_fmamk_f32 v49, v50, 0xbf7e222b, v44
	v_add_f32_e32 v23, v32, v23
	s_delay_alu instid0(VALU_DEP_4) | instskip(SKIP_3) | instid1(VALU_DEP_3)
	v_add_f32_e32 v33, v48, v33
	v_lshl_add_u32 v48, v51, 2, 0
	v_dual_fmac_f32 v44, 0x3f7e222b, v50 :: v_dual_add_f32 v45, v47, v45
	v_add_f32_e32 v19, v49, v19
	v_mad_u32_u24 v4, v40, 52, v48
	s_delay_alu instid0(VALU_DEP_3)
	v_add_f32_e32 v7, v44, v7
	ds_store_2addr_b32 v4, v18, v20 offset1:1
	ds_store_2addr_b32 v4, v43, v22 offset0:2 offset1:3
	ds_store_2addr_b32 v4, v34, v45 offset0:4 offset1:5
	;; [unrolled: 1-line block ×3, first 2 shown]
	v_mad_i32_i24 v43, 0xffffffd0, v40, v4
	v_lshl_add_u32 v44, v40, 2, v48
	v_lshl_add_u32 v59, v15, 2, v48
	;; [unrolled: 1-line block ×3, first 2 shown]
	ds_store_2addr_b32 v4, v23, v35 offset0:8 offset1:9
	ds_store_2addr_b32 v4, v21, v33 offset0:10 offset1:11
	ds_store_b32 v4, v46 offset:48
	v_add_nc_u32_e32 v53, 0x400, v43
	v_add_nc_u32_e32 v7, 0x200, v43
	;; [unrolled: 1-line block ×4, first 2 shown]
	s_waitcnt lgkmcnt(0)
	s_barrier
	buffer_gl0_inv
	ds_load_b32 v47, v44
	ds_load_2addr_b32 v[32:33], v7 offset0:93 offset1:161
	ds_load_2addr_b32 v[20:21], v53 offset0:101 offset1:186
	;; [unrolled: 1-line block ×4, first 2 shown]
	ds_load_b32 v48, v59
	ds_load_b32 v49, v58
	ds_load_b32 v50, v43 offset:3196
	v_lshlrev_b32_e32 v45, 2, v51
                                        ; implicit-def: $vgpr22
                                        ; implicit-def: $vgpr51
	s_and_saveexec_b32 s1, s0
	s_cbranch_execz .LBB0_14
; %bb.13:
	v_add_nc_u32_e32 v22, 0x680, v43
	s_delay_alu instid0(VALU_DEP_2)
	v_add3_u32 v46, 0, v56, v45
	ds_load_2addr_b32 v[22:23], v22 offset0:9 offset1:230
	ds_load_b32 v46, v46
	ds_load_b32 v51, v43 offset:3468
.LBB0_14:
	s_or_b32 exec_lo, exec_lo, s1
	v_add_f32_e32 v52, v29, v8
	v_dual_sub_f32 v28, v28, v36 :: v_dual_add_f32 v29, v29, v37
	v_add_f32_e32 v36, v27, v39
	s_delay_alu instid0(VALU_DEP_3) | instskip(NEXT) | instid1(VALU_DEP_3)
	v_dual_sub_f32 v26, v26, v38 :: v_dual_add_f32 v27, v27, v52
	v_mul_f32_e32 v60, 0xbf6f5d39, v28
	v_mul_f32_e32 v61, 0xbf29c268, v28
	v_sub_f32_e32 v13, v13, v24
	s_delay_alu instid0(VALU_DEP_4) | instskip(SKIP_3) | instid1(VALU_DEP_3)
	v_mul_f32_e32 v63, 0xbf6f5d39, v26
	v_dual_add_f32 v27, v10, v27 :: v_dual_mul_f32 v38, 0xbeedf032, v28
	v_fmamk_f32 v69, v29, 0xbeb58ec6, v60
	v_fma_f32 v60, 0xbeb58ec6, v29, -v60
	v_dual_fmamk_f32 v72, v36, 0xbeb58ec6, v63 :: v_dual_add_f32 v27, v14, v27
	v_mul_f32_e32 v52, 0xbf52af12, v28
	v_fma_f32 v63, 0xbeb58ec6, v36, -v63
	v_add_f32_e32 v14, v14, v25
	s_waitcnt lgkmcnt(0)
	v_dual_add_f32 v27, v6, v27 :: v_dual_mul_f32 v54, 0xbf7e222b, v28
	v_fmamk_f32 v67, v29, 0x3f116cb1, v52
	v_fmamk_f32 v66, v29, 0x3f62ad3f, v38
	v_fma_f32 v38, 0x3f62ad3f, v29, -v38
	s_delay_alu instid0(VALU_DEP_4) | instskip(SKIP_2) | instid1(VALU_DEP_2)
	v_dual_add_f32 v27, v1, v27 :: v_dual_mul_f32 v28, 0xbe750f2a, v28
	v_fma_f32 v52, 0x3f116cb1, v29, -v52
	s_barrier
	v_dual_add_f32 v38, v38, v8 :: v_dual_add_f32 v27, v3, v27
	v_mul_f32_e32 v62, 0xbf52af12, v26
	s_delay_alu instid0(VALU_DEP_3) | instskip(SKIP_1) | instid1(VALU_DEP_4)
	v_dual_fmamk_f32 v71, v29, 0xbf788fa5, v28 :: v_dual_add_f32 v52, v52, v8
	v_fma_f32 v28, 0xbf788fa5, v29, -v28
	v_dual_add_f32 v27, v12, v27 :: v_dual_mul_f32 v64, 0xbe750f2a, v26
	v_add_f32_e32 v67, v67, v8
	v_dual_mul_f32 v65, 0x3f29c268, v26 :: v_dual_add_f32 v66, v66, v8
	s_delay_alu instid0(VALU_DEP_3)
	v_add_f32_e32 v27, v25, v27
	v_fmamk_f32 v68, v29, 0x3df6dbef, v54
	v_fma_f32 v54, 0x3df6dbef, v29, -v54
	v_add_f32_e32 v69, v69, v8
	v_dual_add_f32 v52, v63, v52 :: v_dual_fmamk_f32 v63, v36, 0xbf3f9e67, v65
	v_dual_add_f32 v27, v31, v27 :: v_dual_fmamk_f32 v70, v29, 0xbf3f9e67, v61
	v_fma_f32 v61, 0xbf3f9e67, v29, -v61
	v_dual_fmamk_f32 v29, v36, 0x3f116cb1, v62 :: v_dual_add_f32 v54, v54, v8
	v_fma_f32 v62, 0x3f116cb1, v36, -v62
	v_add_f32_e32 v68, v68, v8
	s_delay_alu instid0(VALU_DEP_4)
	v_add_f32_e32 v61, v61, v8
	v_dual_add_f32 v27, v39, v27 :: v_dual_add_f32 v60, v60, v8
	v_add_f32_e32 v70, v70, v8
	v_add_f32_e32 v39, v71, v8
	v_add_f32_e32 v8, v28, v8
	v_add_f32_e32 v28, v29, v66
	v_dual_add_f32 v29, v62, v38 :: v_dual_fmamk_f32 v38, v36, 0xbf788fa5, v64
	v_fma_f32 v62, 0xbf788fa5, v36, -v64
	v_fma_f32 v64, 0xbf3f9e67, v36, -v65
	v_mul_f32_e32 v65, 0x3f7e222b, v26
	s_delay_alu instid0(VALU_DEP_4) | instskip(SKIP_3) | instid1(VALU_DEP_4)
	v_dual_sub_f32 v9, v9, v30 :: v_dual_add_f32 v38, v38, v68
	v_dual_mul_f32 v26, 0x3eedf032, v26 :: v_dual_add_f32 v27, v37, v27
	v_add_f32_e32 v54, v62, v54
	v_add_f32_e32 v60, v64, v60
	v_dual_add_f32 v10, v10, v31 :: v_dual_mul_f32 v31, 0xbf7e222b, v9
	v_add_f32_e32 v62, v63, v69
	v_fma_f32 v63, 0x3df6dbef, v36, -v65
	v_fmamk_f32 v64, v36, 0x3f62ad3f, v26
	v_add_f32_e32 v37, v72, v67
	v_fmamk_f32 v30, v36, 0x3df6dbef, v65
	buffer_gl0_inv
	v_mul_f32_e32 v25, 0xbf6f5d39, v13
	v_add_f32_e32 v39, v64, v39
	v_fma_f32 v26, 0x3f62ad3f, v36, -v26
	v_add_f32_e32 v36, v63, v61
	v_mul_f32_e32 v63, 0xbe750f2a, v9
	v_fmamk_f32 v61, v10, 0x3df6dbef, v31
	s_delay_alu instid0(VALU_DEP_4) | instskip(SKIP_1) | instid1(VALU_DEP_3)
	v_dual_sub_f32 v5, v5, v11 :: v_dual_add_f32 v8, v26, v8
	v_fma_f32 v26, 0x3df6dbef, v10, -v31
	v_dual_fmamk_f32 v31, v10, 0xbf788fa5, v63 :: v_dual_add_f32 v28, v61, v28
	v_mul_f32_e32 v61, 0x3f6f5d39, v9
	v_fma_f32 v63, 0xbf788fa5, v10, -v63
	s_delay_alu instid0(VALU_DEP_3) | instskip(SKIP_1) | instid1(VALU_DEP_4)
	v_dual_add_f32 v6, v6, v12 :: v_dual_add_f32 v31, v31, v37
	v_add_f32_e32 v30, v30, v70
	v_fmamk_f32 v37, v10, 0xbeb58ec6, v61
	v_add_f32_e32 v26, v26, v29
	v_dual_mul_f32 v29, 0x3eedf032, v9 :: v_dual_add_f32 v52, v63, v52
	v_fma_f32 v61, 0xbeb58ec6, v10, -v61
	s_delay_alu instid0(VALU_DEP_4) | instskip(SKIP_1) | instid1(VALU_DEP_4)
	v_add_f32_e32 v37, v37, v38
	v_add_f32_e32 v1, v1, v3
	v_fmamk_f32 v63, v10, 0x3f62ad3f, v29
	v_fma_f32 v29, 0x3f62ad3f, v10, -v29
	v_mul_f32_e32 v38, 0xbf52af12, v9
	v_dual_add_f32 v54, v61, v54 :: v_dual_mul_f32 v9, 0xbf29c268, v9
	s_delay_alu instid0(VALU_DEP_4) | instskip(NEXT) | instid1(VALU_DEP_3)
	v_add_f32_e32 v61, v63, v62
	v_dual_add_f32 v29, v29, v60 :: v_dual_fmamk_f32 v24, v10, 0x3f116cb1, v38
	v_fma_f32 v38, 0x3f116cb1, v10, -v38
	v_sub_f32_e32 v0, v0, v2
	v_mul_f32_e32 v2, 0xbf6f5d39, v5
	s_delay_alu instid0(VALU_DEP_4) | instskip(SKIP_3) | instid1(VALU_DEP_2)
	v_add_f32_e32 v24, v24, v30
	v_fmamk_f32 v30, v10, 0xbf3f9e67, v9
	v_fma_f32 v9, 0xbf3f9e67, v10, -v9
	v_mul_f32_e32 v3, 0xbe750f2a, v0
	v_add_f32_e32 v8, v9, v8
	v_fma_f32 v9, 0xbeb58ec6, v14, -v25
	v_add_f32_e32 v10, v38, v36
	v_fmamk_f32 v36, v14, 0xbeb58ec6, v25
	s_delay_alu instid0(VALU_DEP_3) | instskip(NEXT) | instid1(VALU_DEP_2)
	v_dual_mul_f32 v38, 0x3f29c268, v13 :: v_dual_add_f32 v9, v9, v26
	v_dual_mul_f32 v26, 0xbf7e222b, v13 :: v_dual_add_f32 v25, v36, v28
	v_add_f32_e32 v30, v30, v39
	v_mul_f32_e32 v36, 0x3eedf032, v13
	s_delay_alu instid0(VALU_DEP_3) | instskip(SKIP_3) | instid1(VALU_DEP_3)
	v_fmamk_f32 v39, v14, 0x3df6dbef, v26
	v_fmamk_f32 v28, v14, 0xbf3f9e67, v38
	v_fma_f32 v38, 0xbf3f9e67, v14, -v38
	v_fma_f32 v26, 0x3df6dbef, v14, -v26
	v_dual_add_f32 v39, v39, v61 :: v_dual_add_f32 v28, v28, v31
	v_fmamk_f32 v31, v14, 0x3f62ad3f, v36
	s_delay_alu instid0(VALU_DEP_4) | instskip(NEXT) | instid1(VALU_DEP_4)
	v_add_f32_e32 v38, v38, v52
	v_add_f32_e32 v26, v26, v29
	s_delay_alu instid0(VALU_DEP_3) | instskip(SKIP_2) | instid1(VALU_DEP_2)
	v_add_f32_e32 v31, v31, v37
	v_mul_f32_e32 v37, 0x3e750f2a, v13
	v_mul_f32_e32 v13, 0x3f52af12, v13
	v_fmamk_f32 v11, v14, 0xbf788fa5, v37
	v_fma_f32 v29, 0xbf788fa5, v14, -v37
	s_delay_alu instid0(VALU_DEP_2) | instskip(SKIP_3) | instid1(VALU_DEP_4)
	v_dual_add_f32 v11, v11, v24 :: v_dual_mul_f32 v12, 0xbf29c268, v5
	v_fma_f32 v36, 0x3f62ad3f, v14, -v36
	v_fmamk_f32 v24, v14, 0x3f116cb1, v13
	v_fma_f32 v13, 0x3f116cb1, v14, -v13
	v_fmamk_f32 v14, v6, 0xbf3f9e67, v12
	s_delay_alu instid0(VALU_DEP_4) | instskip(SKIP_1) | instid1(VALU_DEP_3)
	v_add_f32_e32 v36, v36, v54
	v_dual_add_f32 v10, v29, v10 :: v_dual_mul_f32 v29, 0x3f7e222b, v5
	v_dual_add_f32 v8, v13, v8 :: v_dual_add_f32 v13, v14, v25
	v_mul_f32_e32 v25, 0xbf52af12, v5
	v_fma_f32 v12, 0xbf3f9e67, v6, -v12
	s_delay_alu instid0(VALU_DEP_1) | instskip(SKIP_2) | instid1(VALU_DEP_2)
	v_add_f32_e32 v9, v12, v9
	v_fma_f32 v12, 0x3df6dbef, v6, -v29
	v_add_f32_e32 v24, v24, v30
	v_add_f32_e32 v12, v12, v38
	v_fmamk_f32 v14, v6, 0x3df6dbef, v29
	s_delay_alu instid0(VALU_DEP_1) | instskip(SKIP_1) | instid1(VALU_DEP_2)
	v_dual_mul_f32 v29, 0x3e750f2a, v5 :: v_dual_add_f32 v14, v14, v28
	v_fmamk_f32 v28, v6, 0x3f116cb1, v25
	v_fmamk_f32 v30, v6, 0xbf788fa5, v29
	v_fma_f32 v29, 0xbf788fa5, v6, -v29
	v_fma_f32 v25, 0x3f116cb1, v6, -v25
	s_delay_alu instid0(VALU_DEP_4) | instskip(NEXT) | instid1(VALU_DEP_3)
	v_dual_add_f32 v28, v28, v31 :: v_dual_mul_f32 v31, 0x3eedf032, v5
	v_add_f32_e32 v26, v29, v26
	s_delay_alu instid0(VALU_DEP_3) | instskip(NEXT) | instid1(VALU_DEP_3)
	v_add_f32_e32 v25, v25, v36
                                        ; implicit-def: $vgpr36
	v_fmamk_f32 v5, v6, 0x3f62ad3f, v31
	v_fma_f32 v29, 0x3f62ad3f, v6, -v31
	v_fmamk_f32 v31, v6, 0xbeb58ec6, v2
	v_fma_f32 v2, 0xbeb58ec6, v6, -v2
	v_fmamk_f32 v6, v1, 0xbf788fa5, v3
	v_add_f32_e32 v5, v5, v11
	v_fma_f32 v3, 0xbf788fa5, v1, -v3
	v_add_f32_e32 v11, v31, v24
	v_mul_f32_e32 v24, 0x3eedf032, v0
	v_add_f32_e32 v2, v2, v8
	v_mul_f32_e32 v8, 0xbf29c268, v0
	v_add_f32_e32 v6, v6, v13
	s_delay_alu instid0(VALU_DEP_4) | instskip(SKIP_1) | instid1(VALU_DEP_4)
	v_dual_add_f32 v52, v3, v9 :: v_dual_fmamk_f32 v13, v1, 0x3f62ad3f, v24
	v_fma_f32 v3, 0x3f62ad3f, v1, -v24
	v_fmamk_f32 v24, v1, 0xbf3f9e67, v8
	v_fma_f32 v8, 0xbf3f9e67, v1, -v8
                                        ; implicit-def: $vgpr31
	s_delay_alu instid0(VALU_DEP_4) | instskip(NEXT) | instid1(VALU_DEP_4)
	v_add_f32_e32 v13, v13, v14
	v_add_f32_e32 v3, v3, v12
	s_delay_alu instid0(VALU_DEP_4) | instskip(SKIP_1) | instid1(VALU_DEP_1)
	v_add_f32_e32 v14, v24, v28
	v_mul_f32_e32 v24, 0xbf6f5d39, v0
	v_dual_add_f32 v8, v8, v25 :: v_dual_fmamk_f32 v25, v1, 0xbeb58ec6, v24
	v_dual_add_f32 v10, v29, v10 :: v_dual_mul_f32 v9, 0x3f52af12, v0
	v_mul_f32_e32 v0, 0x3f7e222b, v0
	v_fma_f32 v24, 0xbeb58ec6, v1, -v24
	s_delay_alu instid0(VALU_DEP_4) | instskip(NEXT) | instid1(VALU_DEP_4)
	v_add_f32_e32 v5, v25, v5
	v_fmamk_f32 v12, v1, 0x3f116cb1, v9
	v_fma_f32 v9, 0x3f116cb1, v1, -v9
	v_fmamk_f32 v28, v1, 0x3df6dbef, v0
	v_fma_f32 v0, 0x3df6dbef, v1, -v0
	s_delay_alu instid0(VALU_DEP_3) | instskip(SKIP_1) | instid1(VALU_DEP_4)
	v_dual_add_f32 v1, v9, v26 :: v_dual_add_f32 v30, v30, v39
	v_add_f32_e32 v9, v24, v10
	v_add_f32_e32 v10, v28, v11
	s_delay_alu instid0(VALU_DEP_4) | instskip(NEXT) | instid1(VALU_DEP_4)
	v_add_f32_e32 v0, v0, v2
	v_add_f32_e32 v12, v12, v30
	ds_store_2addr_b32 v4, v27, v6 offset1:1
	ds_store_2addr_b32 v4, v13, v14 offset0:2 offset1:3
	ds_store_2addr_b32 v4, v12, v5 offset0:4 offset1:5
	;; [unrolled: 1-line block ×5, first 2 shown]
	ds_store_b32 v4, v52 offset:48
	s_waitcnt lgkmcnt(0)
	s_barrier
	buffer_gl0_inv
	ds_load_b32 v54, v44
	ds_load_2addr_b32 v[26:27], v7 offset0:93 offset1:161
	ds_load_2addr_b32 v[38:39], v53 offset0:101 offset1:186
	ds_load_2addr_b32 v[24:25], v55 offset0:151 offset1:219
	ds_load_2addr_b32 v[28:29], v57 offset0:126 offset1:194
	ds_load_b32 v53, v59
	ds_load_b32 v55, v58
	ds_load_b32 v30, v43 offset:3196
	s_and_saveexec_b32 s1, s0
	s_cbranch_execz .LBB0_16
; %bb.15:
	v_add_nc_u32_e32 v0, 0x680, v43
	v_add3_u32 v1, 0, v56, v45
	ds_load_2addr_b32 v[36:37], v0 offset0:9 offset1:230
	ds_load_b32 v52, v1
	ds_load_b32 v31, v43 offset:3468
.LBB0_16:
	s_or_b32 exec_lo, exec_lo, s1
	v_and_b32_e32 v0, 0xff, v40
	v_and_b32_e32 v1, 0xff, v42
	;; [unrolled: 1-line block ×3, first 2 shown]
	s_delay_alu instid0(VALU_DEP_3) | instskip(NEXT) | instid1(VALU_DEP_3)
	v_mul_lo_u16 v0, 0x4f, v0
	v_mul_lo_u16 v1, 0x4f, v1
	s_delay_alu instid0(VALU_DEP_3) | instskip(NEXT) | instid1(VALU_DEP_3)
	v_mul_lo_u16 v2, 0x4f, v2
	v_lshrrev_b16 v56, 10, v0
	s_delay_alu instid0(VALU_DEP_3) | instskip(NEXT) | instid1(VALU_DEP_3)
	v_lshrrev_b16 v57, 10, v1
	v_lshrrev_b16 v58, 10, v2
	s_delay_alu instid0(VALU_DEP_3) | instskip(NEXT) | instid1(VALU_DEP_3)
	v_mul_lo_u16 v1, v56, 13
	v_mul_lo_u16 v2, v57, 13
	s_delay_alu instid0(VALU_DEP_3) | instskip(NEXT) | instid1(VALU_DEP_3)
	v_mul_lo_u16 v3, v58, 13
	v_sub_nc_u16 v1, v40, v1
	s_delay_alu instid0(VALU_DEP_3) | instskip(NEXT) | instid1(VALU_DEP_2)
	v_sub_nc_u16 v2, v42, v2
	v_and_b32_e32 v42, 0xff, v1
	s_delay_alu instid0(VALU_DEP_2) | instskip(SKIP_1) | instid1(VALU_DEP_3)
	v_and_b32_e32 v59, 0xff, v2
	v_sub_nc_u16 v1, v15, v3
	v_mul_u32_u24_e32 v2, 3, v42
	s_delay_alu instid0(VALU_DEP_2) | instskip(NEXT) | instid1(VALU_DEP_2)
	v_and_b32_e32 v60, 0xff, v1
	v_lshlrev_b32_e32 v2, 3, v2
	s_clause 0x1
	global_load_b128 v[8:11], v2, s[4:5]
	global_load_b64 v[63:64], v2, s[4:5] offset:16
	v_and_b32_e32 v0, 0xffff, v41
	s_delay_alu instid0(VALU_DEP_1) | instskip(NEXT) | instid1(VALU_DEP_1)
	v_mul_u32_u24_e32 v0, 0x4ec5, v0
	v_lshrrev_b32_e32 v0, 18, v0
	s_delay_alu instid0(VALU_DEP_1) | instskip(NEXT) | instid1(VALU_DEP_1)
	v_mul_lo_u16 v0, v0, 13
	v_sub_nc_u16 v0, v41, v0
	s_waitcnt vmcnt(0) lgkmcnt(4)
	v_dual_mul_f32 v71, v26, v9 :: v_dual_mul_f32 v72, v24, v64
	v_mul_u32_u24_e32 v1, 3, v59
	s_delay_alu instid0(VALU_DEP_1)
	v_dual_mul_f32 v64, v34, v64 :: v_dual_lshlrev_b32 v1, 3, v1
	s_clause 0x1
	global_load_b128 v[12:15], v1, s[4:5]
	global_load_b64 v[65:66], v1, s[4:5] offset:16
	v_and_b32_e32 v61, 0xffff, v0
	v_mul_u32_u24_e32 v0, 3, v60
	v_and_b32_e32 v57, 0xffff, v57
	s_waitcnt vmcnt(1)
	s_delay_alu instid0(VALU_DEP_2)
	v_dual_mul_f32 v73, v27, v13 :: v_dual_lshlrev_b32 v4, 3, v0
	s_waitcnt vmcnt(0)
	v_mul_f32_e32 v74, v25, v66
	v_mul_u32_u24_e32 v2, 3, v61
	v_mul_f32_e32 v66, v35, v66
	v_mad_u32_u24 v57, 0xd0, v57, 0
	s_delay_alu instid0(VALU_DEP_3)
	v_lshlrev_b32_e32 v62, 3, v2
	s_clause 0x3
	global_load_b128 v[0:3], v4, s[4:5]
	global_load_b64 v[67:68], v4, s[4:5] offset:16
	global_load_b128 v[4:7], v62, s[4:5]
	global_load_b64 v[69:70], v62, s[4:5] offset:16
	v_and_b32_e32 v58, 0xffff, v58
	v_lshlrev_b32_e32 v59, 2, v59
	v_and_b32_e32 v56, 0xffff, v56
	v_fmac_f32_e32 v66, v25, v65
	s_waitcnt vmcnt(0) lgkmcnt(0)
	s_barrier
	v_add3_u32 v57, v57, v59, v45
	buffer_gl0_inv
	v_mul_f32_e32 v75, v38, v1
	v_dual_mul_f32 v76, v30, v68 :: v_dual_mul_f32 v77, v36, v5
	v_mul_f32_e32 v59, v22, v5
	v_mul_f32_e32 v5, v37, v7
	v_mad_u32_u24 v62, 0xd0, v58, 0
	v_lshlrev_b32_e32 v58, 2, v42
	s_delay_alu instid0(VALU_DEP_4)
	v_dual_fmac_f32 v59, v36, v4 :: v_dual_and_b32 v42, 0xff, v41
	v_lshlrev_b32_e32 v41, 2, v61
	v_mul_f32_e32 v61, v33, v13
	v_mad_u32_u24 v56, 0xd0, v56, 0
	v_mul_f32_e32 v13, v28, v15
	v_fma_f32 v25, v20, v0, -v75
	s_delay_alu instid0(VALU_DEP_4)
	v_fmac_f32_e32 v61, v27, v12
	v_lshlrev_b32_e32 v60, 2, v60
	v_fma_f32 v27, v22, v4, -v77
	v_fma_f32 v4, v23, v6, -v5
	v_fmac_f32_e32 v64, v24, v63
	v_mul_f32_e32 v78, v31, v70
	v_add3_u32 v58, v56, v58, v45
	v_mul_f32_e32 v70, v51, v70
	v_fma_f32 v24, v33, v12, -v73
	v_fma_f32 v12, v18, v14, -v13
	;; [unrolled: 1-line block ×4, first 2 shown]
	v_sub_f32_e32 v51, v61, v66
	v_add3_u32 v56, v62, v60, v45
	v_dual_mul_f32 v62, v32, v9 :: v_dual_mul_f32 v9, v39, v11
	v_dual_mul_f32 v60, v20, v1 :: v_dual_mul_f32 v1, v29, v3
	v_fma_f32 v32, v32, v8, -v71
	s_delay_alu instid0(VALU_DEP_3) | instskip(NEXT) | instid1(VALU_DEP_4)
	v_fmac_f32_e32 v62, v26, v8
	v_fma_f32 v8, v21, v10, -v9
	v_fma_f32 v9, v34, v63, -v72
	v_fmac_f32_e32 v60, v38, v0
	v_fma_f32 v0, v19, v2, -v1
	v_fma_f32 v1, v50, v67, -v76
	v_fmac_f32_e32 v70, v31, v69
	v_mul_f32_e32 v68, v50, v68
	v_sub_f32_e32 v22, v24, v13
	v_sub_f32_e32 v8, v47, v8
	s_delay_alu instid0(VALU_DEP_4) | instskip(SKIP_1) | instid1(VALU_DEP_4)
	v_dual_sub_f32 v20, v32, v9 :: v_dual_sub_f32 v35, v59, v70
	v_dual_sub_f32 v31, v48, v0 :: v_dual_sub_f32 v36, v25, v1
	v_fma_f32 v24, v24, 2.0, -v22
	v_fmac_f32_e32 v68, v30, v67
	v_sub_f32_e32 v30, v49, v12
	v_sub_f32_e32 v38, v27, v5
	v_fma_f32 v5, v47, 2.0, -v8
	v_fma_f32 v9, v32, 2.0, -v20
	;; [unrolled: 1-line block ×5, first 2 shown]
	v_sub_f32_e32 v1, v46, v4
	v_sub_f32_e32 v13, v5, v9
	;; [unrolled: 1-line block ×4, first 2 shown]
	v_dual_sub_f32 v25, v47, v25 :: v_dual_sub_f32 v50, v60, v68
	v_fma_f32 v46, v46, 2.0, -v1
	v_fma_f32 v27, v27, 2.0, -v38
	v_sub_f32_e32 v0, v8, v63
	v_sub_f32_e32 v4, v30, v51
	;; [unrolled: 1-line block ×4, first 2 shown]
	v_fma_f32 v34, v5, 2.0, -v13
	v_fma_f32 v12, v8, 2.0, -v0
	;; [unrolled: 1-line block ×4, first 2 shown]
	v_sub_f32_e32 v31, v46, v27
	v_fma_f32 v30, v1, 2.0, -v32
	v_fma_f32 v1, v33, 2.0, -v9
	;; [unrolled: 1-line block ×3, first 2 shown]
	ds_store_2addr_b32 v58, v13, v0 offset0:26 offset1:39
	ds_store_2addr_b32 v58, v34, v12 offset1:13
	ds_store_2addr_b32 v57, v1, v8 offset1:13
	ds_store_2addr_b32 v57, v9, v4 offset0:26 offset1:39
	ds_store_2addr_b32 v56, v5, v24 offset1:13
	ds_store_2addr_b32 v56, v25, v26 offset0:26 offset1:39
	v_fma_f32 v27, v46, 2.0, -v31
	s_and_saveexec_b32 s1, s0
	s_cbranch_execz .LBB0_18
; %bb.17:
	v_mul_lo_u16 v33, 0x4f, v42
	s_delay_alu instid0(VALU_DEP_1) | instskip(NEXT) | instid1(VALU_DEP_1)
	v_lshrrev_b16 v33, 10, v33
	v_and_b32_e32 v33, 0xffff, v33
	s_delay_alu instid0(VALU_DEP_1) | instskip(NEXT) | instid1(VALU_DEP_1)
	v_mad_u32_u24 v33, 0xd0, v33, 0
	v_add3_u32 v33, v33, v41, v45
	ds_store_2addr_b32 v33, v27, v30 offset1:13
	ds_store_2addr_b32 v33, v31, v32 offset0:26 offset1:39
.LBB0_18:
	s_or_b32 exec_lo, exec_lo, s1
	v_cmp_gt_u32_e64 s1, 52, v40
	s_waitcnt lgkmcnt(0)
	s_barrier
	buffer_gl0_inv
	s_and_saveexec_b32 s2, s1
	s_cbranch_execz .LBB0_20
; %bb.19:
	v_add_nc_u32_e32 v4, 0x400, v43
	v_add_nc_u32_e32 v24, 0x600, v43
	;; [unrolled: 1-line block ×4, first 2 shown]
	ds_load_b32 v34, v44
	ds_load_2addr_b32 v[12:13], v43 offset0:52 offset1:104
	ds_load_2addr_b32 v[0:1], v43 offset0:156 offset1:208
	;; [unrolled: 1-line block ×8, first 2 shown]
.LBB0_20:
	s_or_b32 exec_lo, exec_lo, s2
	v_mul_f32_e32 v11, v21, v11
	v_mul_f32_e32 v15, v18, v15
	;; [unrolled: 1-line block ×4, first 2 shown]
	v_fma_f32 v18, v61, 2.0, -v51
	v_fmac_f32_e32 v11, v39, v10
	v_fmac_f32_e32 v15, v28, v14
	v_fmac_f32_e32 v3, v29, v2
	v_fmac_f32_e32 v7, v37, v6
	v_fma_f32 v10, v62, 2.0, -v63
	v_sub_f32_e32 v23, v54, v11
	v_sub_f32_e32 v39, v55, v15
	;; [unrolled: 1-line block ×4, first 2 shown]
	v_fma_f32 v19, v60, 2.0, -v50
	v_fma_f32 v2, v54, 2.0, -v23
	;; [unrolled: 1-line block ×4, first 2 shown]
	v_add_f32_e32 v28, v37, v38
	s_delay_alu instid0(VALU_DEP_4) | instskip(SKIP_3) | instid1(VALU_DEP_4)
	v_dual_add_f32 v14, v23, v20 :: v_dual_sub_f32 v21, v2, v10
	v_fma_f32 v3, v53, 2.0, -v29
	v_fma_f32 v46, v52, 2.0, -v37
	v_sub_f32_e32 v11, v15, v18
	v_fma_f32 v20, v23, 2.0, -v14
	v_fma_f32 v35, v2, 2.0, -v21
	v_add_f32_e32 v2, v39, v22
	v_dual_sub_f32 v7, v3, v19 :: v_dual_add_f32 v18, v29, v36
	v_sub_f32_e32 v23, v46, v6
	v_fma_f32 v15, v15, 2.0, -v11
	s_delay_alu instid0(VALU_DEP_4) | instskip(NEXT) | instid1(VALU_DEP_4)
	v_fma_f32 v10, v39, 2.0, -v2
	v_fma_f32 v3, v3, 2.0, -v7
	;; [unrolled: 1-line block ×5, first 2 shown]
	s_waitcnt lgkmcnt(0)
	s_barrier
	buffer_gl0_inv
	ds_store_2addr_b32 v58, v35, v20 offset1:13
	ds_store_2addr_b32 v58, v21, v14 offset0:26 offset1:39
	ds_store_2addr_b32 v57, v15, v10 offset1:13
	ds_store_2addr_b32 v57, v11, v2 offset0:26 offset1:39
	;; [unrolled: 2-line block ×3, first 2 shown]
	s_and_saveexec_b32 s2, s0
	s_cbranch_execz .LBB0_22
; %bb.21:
	v_mul_lo_u16 v29, 0x4f, v42
	s_delay_alu instid0(VALU_DEP_1) | instskip(NEXT) | instid1(VALU_DEP_1)
	v_lshrrev_b16 v29, 10, v29
	v_and_b32_e32 v29, 0xffff, v29
	s_delay_alu instid0(VALU_DEP_1) | instskip(NEXT) | instid1(VALU_DEP_1)
	v_mad_u32_u24 v29, 0xd0, v29, 0
	v_add3_u32 v29, v29, v41, v45
	ds_store_2addr_b32 v29, v19, v22 offset1:13
	ds_store_2addr_b32 v29, v23, v28 offset0:26 offset1:39
.LBB0_22:
	s_or_b32 exec_lo, exec_lo, s2
	s_waitcnt lgkmcnt(0)
	s_barrier
	buffer_gl0_inv
	s_and_saveexec_b32 s0, s1
	s_cbranch_execnz .LBB0_25
; %bb.23:
	s_or_b32 exec_lo, exec_lo, s0
	s_and_b32 s0, vcc_lo, s1
	s_delay_alu instid0(SALU_CYCLE_1)
	s_and_saveexec_b32 s1, s0
	s_cbranch_execnz .LBB0_26
.LBB0_24:
	s_endpgm
.LBB0_25:
	v_add_nc_u32_e32 v2, 0x400, v43
	v_add_nc_u32_e32 v6, 0x600, v43
	;; [unrolled: 1-line block ×4, first 2 shown]
	ds_load_b32 v35, v44
	ds_load_2addr_b32 v[20:21], v43 offset0:52 offset1:104
	ds_load_2addr_b32 v[14:15], v43 offset0:156 offset1:208
	ds_load_2addr_b32 v[10:11], v2 offset0:4 offset1:56
	ds_load_2addr_b32 v[2:3], v2 offset0:108 offset1:160
	ds_load_2addr_b32 v[6:7], v6 offset0:84 offset1:136
	ds_load_2addr_b32 v[18:19], v22 offset0:60 offset1:112
	ds_load_2addr_b32 v[22:23], v22 offset0:164 offset1:216
	ds_load_2addr_b32 v[28:29], v28 offset0:12 offset1:64
	s_or_b32 exec_lo, exec_lo, s0
	s_and_b32 s0, vcc_lo, s1
	s_delay_alu instid0(SALU_CYCLE_1)
	s_and_saveexec_b32 s1, s0
	s_cbranch_execz .LBB0_24
.LBB0_26:
	v_dual_mov_b32 v37, 0 :: v_dual_lshlrev_b32 v36, 4, v40
	s_delay_alu instid0(VALU_DEP_1) | instskip(NEXT) | instid1(VALU_DEP_1)
	v_lshlrev_b64 v[36:37], 3, v[36:37]
	v_add_co_u32 v36, vcc_lo, s4, v36
	s_delay_alu instid0(VALU_DEP_2)
	v_add_co_ci_u32_e32 v37, vcc_lo, s5, v37, vcc_lo
	s_clause 0x7
	global_load_b128 v[41:44], v[36:37], off offset:424
	global_load_b128 v[64:67], v[36:37], off offset:312
	;; [unrolled: 1-line block ×8, first 2 shown]
	s_waitcnt vmcnt(6) lgkmcnt(0)
	v_dual_mul_f32 v36, v29, v43 :: v_dual_mul_f32 v51, v20, v64
	v_mul_f32_e32 v20, v20, v65
	v_dual_mul_f32 v38, v29, v44 :: v_dual_mul_f32 v29, v28, v41
	v_mul_f32_e32 v50, v21, v66
	v_dual_mul_f32 v21, v21, v67 :: v_dual_mul_f32 v28, v28, v42
	s_waitcnt vmcnt(4)
	v_dual_mul_f32 v37, v23, v70 :: v_dual_mul_f32 v52, v14, v76
	v_mul_f32_e32 v46, v22, v68
	s_waitcnt vmcnt(3)
	v_dual_mul_f32 v54, v15, v78 :: v_dual_mul_f32 v53, v18, v80
	v_dual_mul_f32 v15, v15, v79 :: v_dual_mul_f32 v22, v22, v69
	s_waitcnt vmcnt(1)
	v_mul_f32_e32 v57, v7, v90
	v_dual_mul_f32 v48, v19, v82 :: v_dual_mul_f32 v61, v6, v88
	v_dual_mul_f32 v56, v10, v84 :: v_dual_mul_f32 v7, v7, v91
	v_dual_mul_f32 v58, v11, v86 :: v_dual_fmac_f32 v51, v12, v65
	v_dual_fmac_f32 v36, v33, v44 :: v_dual_fmac_f32 v53, v26, v81
	v_fma_f32 v74, v13, v66, -v21
	v_fma_f32 v49, v32, v41, -v28
	v_dual_mul_f32 v23, v23, v71 :: v_dual_mul_f32 v10, v10, v85
	s_waitcnt vmcnt(0)
	v_mul_f32_e32 v63, v3, v94
	v_dual_mul_f32 v11, v11, v87 :: v_dual_mul_f32 v60, v2, v92
	v_dual_fmac_f32 v29, v32, v42 :: v_dual_mul_f32 v2, v2, v93
	v_dual_fmac_f32 v37, v31, v71 :: v_dual_mul_f32 v6, v6, v89
	v_fmac_f32_e32 v57, v25, v91
	v_dual_fmac_f32 v50, v13, v67 :: v_dual_fmac_f32 v61, v24, v89
	v_dual_fmac_f32 v46, v30, v69 :: v_dual_add_f32 v45, v36, v51
	v_dual_fmac_f32 v54, v1, v79 :: v_dual_sub_f32 v89, v74, v49
	v_fma_f32 v71, v1, v78, -v15
	v_fma_f32 v59, v30, v68, -v22
	v_fmac_f32_e32 v48, v27, v83
	v_fmac_f32_e32 v56, v8, v85
	v_dual_mul_f32 v14, v14, v77 :: v_dual_mul_f32 v19, v19, v83
	v_dual_mul_f32 v18, v18, v81 :: v_dual_mul_f32 v3, v3, v95
	v_fma_f32 v75, v12, v64, -v20
	v_fma_f32 v47, v33, v43, -v38
	;; [unrolled: 1-line block ×4, first 2 shown]
	v_dual_fmac_f32 v58, v9, v87 :: v_dual_sub_f32 v85, v51, v36
	v_add_f32_e32 v43, v29, v50
	v_dual_add_f32 v31, v46, v54 :: v_dual_add_f32 v30, v48, v56
	v_dual_add_f32 v39, v59, v71 :: v_dual_sub_f32 v84, v50, v29
	v_dual_fmac_f32 v52, v0, v77 :: v_dual_fmac_f32 v63, v5, v95
	v_fma_f32 v73, v0, v76, -v14
	v_fma_f32 v62, v27, v82, -v19
	v_fma_f32 v64, v26, v80, -v18
	v_dual_fmac_f32 v60, v4, v93 :: v_dual_sub_f32 v87, v71, v59
	v_fma_f32 v68, v4, v92, -v2
	v_fma_f32 v65, v25, v90, -v7
	;; [unrolled: 1-line block ×4, first 2 shown]
	v_dual_sub_f32 v90, v75, v47 :: v_dual_add_f32 v25, v57, v60
	v_dual_mul_f32 v98, 0x3ee437d1, v45 :: v_dual_mul_f32 v113, 0x3ee437d1, v30
	v_dual_mul_f32 v92, 0xbe8c1d8e, v31 :: v_dual_mul_f32 v15, 0xbe8c1d8e, v45
	v_mul_f32_e32 v21, 0x3f3d2fb0, v30
	v_dual_sub_f32 v82, v54, v46 :: v_dual_mul_f32 v101, 0xbf4c4adb, v84
	v_sub_f32_e32 v80, v58, v53
	v_fma_f32 v69, v9, v86, -v11
	v_dual_add_f32 v32, v37, v52 :: v_dual_add_f32 v41, v55, v73
	v_dual_add_f32 v24, v61, v63 :: v_dual_sub_f32 v77, v63, v61
	v_dual_sub_f32 v72, v67, v66 :: v_dual_mul_f32 v95, 0xbf1a4643, v43
	v_mul_f32_e32 v99, 0x3f763a35, v82
	s_delay_alu instid0(VALU_DEP_4)
	v_dual_mul_f32 v19, 0x3dbcf732, v45 :: v_dual_mul_f32 v4, 0x3dbcf732, v32
	v_dual_mul_f32 v144, 0x3f65296c, v80 :: v_dual_fmamk_f32 v149, v90, 0x3f65296c, v98
	v_fmamk_f32 v160, v90, 0x3f763a35, v15
	v_dual_sub_f32 v88, v73, v55 :: v_dual_sub_f32 v83, v52, v37
	v_dual_add_f32 v26, v53, v58 :: v_dual_add_f32 v33, v64, v69
	v_dual_add_f32 v44, v47, v75 :: v_dual_mul_f32 v93, 0xbf7ba420, v32
	v_dual_mul_f32 v22, 0xbf59a7d5, v24 :: v_dual_add_f32 v149, v35, v149
	s_delay_alu instid0(VALU_DEP_3)
	v_dual_mul_f32 v18, 0xbf7ba420, v43 :: v_dual_mul_f32 v11, 0xbf7ba420, v26
	v_dual_mul_f32 v141, 0xbf1a4643, v30 :: v_dual_add_f32 v160, v35, v160
	v_fmamk_f32 v151, v89, 0x3f4c4adb, v95
	v_mul_f32_e32 v102, 0xbf65296c, v85
	v_fmamk_f32 v156, v90, 0x3f7ee86f, v19
	v_dual_add_f32 v42, v49, v74 :: v_dual_mul_f32 v23, 0x3dbcf732, v25
	v_dual_mul_f32 v100, 0x3e3c28d5, v83 :: v_dual_fmamk_f32 v157, v89, 0x3e3c28d5, v18
	v_dual_mul_f32 v107, 0xbf06c442, v80 :: v_dual_mul_f32 v2, 0xbf06c442, v85
	s_delay_alu instid0(VALU_DEP_4)
	v_dual_mul_f32 v119, 0xbf4c4adb, v77 :: v_dual_add_f32 v156, v35, v156
	v_dual_mul_f32 v0, 0xbf59a7d5, v45 :: v_dual_add_f32 v149, v149, v151
	v_dual_mul_f32 v125, 0x3ee437d1, v31 :: v_dual_fmamk_f32 v150, v44, 0x3ee437d1, v102
	v_dual_mul_f32 v116, 0xbf7ee86f, v85 :: v_dual_mul_f32 v5, 0xbf7ee86f, v83
	v_mul_f32_e32 v103, 0x3f3d2fb0, v24
	v_dual_mul_f32 v130, 0xbf763a35, v85 :: v_dual_fmamk_f32 v155, v87, 0xbf763a35, v92
	v_dual_mul_f32 v117, 0xbf1a4643, v24 :: v_dual_fmamk_f32 v152, v42, 0xbf1a4643, v101
	v_dual_mul_f32 v139, 0x3f3d2fb0, v31 :: v_dual_add_f32 v156, v156, v157
	v_dual_add_f32 v150, v34, v150 :: v_dual_mul_f32 v1, 0x3ee437d1, v43
	v_fmamk_f32 v157, v44, 0xbf59a7d5, v2
	v_dual_mul_f32 v126, 0x3f06c442, v84 :: v_dual_fmamk_f32 v151, v90, 0x3f06c442, v0
	v_dual_sub_f32 v86, v70, v62 :: v_dual_sub_f32 v81, v56, v48
	v_mul_f32_e32 v96, 0xbeb8f4ab, v80
	v_mul_f32_e32 v112, 0xbe3c28d5, v84
	v_dual_mul_f32 v121, 0x3dbcf732, v26 :: v_dual_fmamk_f32 v158, v44, 0x3dbcf732, v116
	v_dual_mul_f32 v12, 0xbe3c28d5, v80 :: v_dual_mul_f32 v135, 0xbe3c28d5, v85
	v_fmamk_f32 v162, v44, 0xbe8c1d8e, v130
	v_add_f32_e32 v150, v150, v152
	v_dual_fmamk_f32 v152, v89, 0xbf65296c, v1 :: v_dual_add_f32 v151, v35, v151
	v_mul_f32_e32 v110, 0x3f763a35, v83
	v_dual_mul_f32 v14, 0xbf59a7d5, v43 :: v_dual_fmamk_f32 v163, v42, 0xbf59a7d5, v126
	v_mul_f32_e32 v129, 0xbe3c28d5, v81
	v_dual_mul_f32 v3, 0x3f65296c, v84 :: v_dual_add_f32 v158, v34, v158
	v_dual_mul_f32 v147, 0x3dbcf732, v24 :: v_dual_add_f32 v162, v34, v162
	v_fmamk_f32 v153, v88, 0xbe3c28d5, v93
	v_fmamk_f32 v159, v42, 0xbf7ba420, v112
	v_dual_add_f32 v151, v151, v152 :: v_dual_fmamk_f32 v152, v44, 0xbf7ba420, v135
	v_fma_f32 v135, 0xbf7ba420, v44, -v135
	v_dual_sub_f32 v78, v69, v64 :: v_dual_sub_f32 v79, v60, v57
	s_delay_alu instid0(VALU_DEP_4) | instskip(NEXT) | instid1(VALU_DEP_3)
	v_dual_mul_f32 v143, 0x3ee437d1, v26 :: v_dual_add_f32 v158, v158, v159
	v_dual_fmamk_f32 v154, v41, 0xbf7ba420, v100 :: v_dual_add_f32 v135, v34, v135
	v_dual_add_f32 v162, v162, v163 :: v_dual_add_f32 v149, v149, v153
	s_delay_alu instid0(VALU_DEP_2)
	v_dual_fmamk_f32 v153, v41, 0xbe8c1d8e, v110 :: v_dual_add_f32 v150, v150, v154
	v_dual_mul_f32 v94, 0xbf7ee86f, v79 :: v_dual_add_f32 v157, v34, v157
	v_dual_mul_f32 v111, 0x3eb8f4ab, v82 :: v_dual_mul_f32 v136, 0x3eb8f4ab, v84
	v_dual_mul_f32 v122, 0xbf7ba420, v30 :: v_dual_mul_f32 v9, 0xbf7ba420, v45
	v_dual_mul_f32 v138, 0xbf06c442, v83 :: v_dual_fmamk_f32 v161, v89, 0xbf06c442, v14
	v_dual_fmac_f32 v0, 0xbf06c442, v90 :: v_dual_add_f32 v153, v158, v153
	v_fmamk_f32 v159, v42, 0x3ee437d1, v3
	v_mul_f32_e32 v134, 0x3f6eb680, v43
	s_delay_alu instid0(VALU_DEP_4)
	v_add_f32_e32 v160, v160, v161
	v_dual_add_f32 v152, v34, v152 :: v_dual_fmac_f32 v1, 0x3f65296c, v89
	v_fma_f32 v2, 0xbf59a7d5, v44, -v2
	v_add_f32_e32 v0, v35, v0
	v_dual_mul_f32 v118, 0x3f6eb680, v25 :: v_dual_add_f32 v157, v157, v159
	v_fmamk_f32 v159, v42, 0x3f6eb680, v136
	v_fmamk_f32 v161, v90, 0x3e3c28d5, v9
	v_dual_mul_f32 v114, 0xbe8c1d8e, v32 :: v_dual_mul_f32 v145, 0xbe8c1d8e, v25
	v_dual_mul_f32 v124, 0x3f3d2fb0, v32 :: v_dual_mul_f32 v13, 0x3f3d2fb0, v25
	v_dual_mul_f32 v120, 0xbeb8f4ab, v79 :: v_dual_fmamk_f32 v163, v89, 0xbeb8f4ab, v134
	v_dual_fmac_f32 v9, 0xbe3c28d5, v90 :: v_dual_add_f32 v0, v0, v1
	v_add_f32_e32 v152, v152, v159
	v_dual_mul_f32 v10, 0x3f6eb680, v30 :: v_dual_add_f32 v161, v35, v161
	v_fma_f32 v3, 0x3ee437d1, v42, -v3
	v_dual_add_f32 v2, v34, v2 :: v_dual_fmamk_f32 v1, v33, 0x3f6eb680, v96
	v_fmamk_f32 v158, v88, 0x3f7ee86f, v4
	v_fmac_f32_e32 v4, 0xbf7ee86f, v88
	v_dual_add_f32 v38, v62, v70 :: v_dual_mul_f32 v97, 0x3f2c7751, v81
	v_dual_mul_f32 v109, 0xbf65296c, v81 :: v_dual_mul_f32 v128, 0xbf65296c, v82
	v_dual_mul_f32 v105, 0xbf1a4643, v25 :: v_dual_mul_f32 v6, 0xbf1a4643, v31
	;; [unrolled: 1-line block ×3, first 2 shown]
	v_dual_mul_f32 v8, 0xbeb8f4ab, v81 :: v_dual_add_f32 v161, v161, v163
	v_fmamk_f32 v163, v39, 0xbe8c1d8e, v99
	v_dual_fmamk_f32 v159, v86, 0xbf2c7751, v21 :: v_dual_fmamk_f32 v154, v88, 0xbf2c7751, v124
	v_fma_f32 v136, 0x3f6eb680, v42, -v136
	v_dual_add_f32 v2, v2, v3 :: v_dual_fmamk_f32 v3, v88, 0xbf763a35, v114
	v_add_f32_e32 v0, v0, v4
	v_fmamk_f32 v4, v39, 0x3f6eb680, v111
	v_dual_mul_f32 v20, 0x3f6eb680, v26 :: v_dual_mul_f32 v115, 0x3f6eb680, v31
	v_dual_mul_f32 v108, 0xbf59a7d5, v26 :: v_dual_mul_f32 v137, 0xbf59a7d5, v32
	;; [unrolled: 1-line block ×3, first 2 shown]
	v_dual_fmac_f32 v134, 0x3eb8f4ab, v89 :: v_dual_add_f32 v151, v151, v158
	v_add_f32_e32 v135, v135, v136
	v_add_f32_e32 v3, v156, v3
	;; [unrolled: 1-line block ×3, first 2 shown]
	v_dual_add_f32 v150, v150, v163 :: v_dual_fmamk_f32 v163, v87, 0x3f65296c, v125
	v_dual_add_f32 v4, v153, v4 :: v_dual_fmamk_f32 v153, v87, 0xbf4c4adb, v6
	v_fmamk_f32 v158, v41, 0xbf59a7d5, v138
	v_fma_f32 v138, 0xbf59a7d5, v41, -v138
	v_fmamk_f32 v156, v41, 0x3f3d2fb0, v127
	v_dual_sub_f32 v76, v68, v65 :: v_dual_add_f32 v27, v66, v67
	v_dual_add_f32 v28, v65, v68 :: v_dual_mul_f32 v91, 0xbf06c442, v77
	s_delay_alu instid0(VALU_DEP_3)
	v_dual_add_f32 v135, v135, v138 :: v_dual_add_f32 v156, v162, v156
	v_dual_fmamk_f32 v162, v88, 0x3f06c442, v137 :: v_dual_add_f32 v149, v149, v155
	v_dual_fmac_f32 v137, 0xbf06c442, v88 :: v_dual_add_f32 v154, v154, v163
	v_add_f32_e32 v151, v151, v153
	v_dual_fmamk_f32 v153, v39, 0x3f3d2fb0, v140 :: v_dual_add_f32 v152, v152, v158
	v_fmamk_f32 v138, v87, 0xbeb8f4ab, v115
	v_fmamk_f32 v160, v41, 0x3dbcf732, v5
	v_fma_f32 v5, 0x3dbcf732, v41, -v5
	v_dual_mul_f32 v106, 0x3f4c4adb, v79 :: v_dual_mul_f32 v7, 0x3f4c4adb, v82
	v_dual_mul_f32 v132, 0xbe8c1d8e, v24 :: v_dual_add_f32 v9, v35, v9
	s_delay_alu instid0(VALU_DEP_3) | instskip(SKIP_1) | instid1(VALU_DEP_4)
	v_add_f32_e32 v2, v2, v5
	v_fmamk_f32 v5, v86, 0x3f65296c, v113
	v_dual_fmamk_f32 v163, v39, 0xbf1a4643, v7 :: v_dual_add_f32 v152, v152, v153
	v_fmamk_f32 v153, v86, 0x3e3c28d5, v122
	v_dual_mul_f32 v123, 0x3f7ee86f, v80 :: v_dual_mul_f32 v148, 0x3f7ee86f, v77
	v_dual_mul_f32 v142, 0xbf4c4adb, v81 :: v_dual_add_f32 v9, v9, v134
	v_fma_f32 v7, 0xbf1a4643, v39, -v7
	s_delay_alu instid0(VALU_DEP_4) | instskip(SKIP_4) | instid1(VALU_DEP_3)
	v_add_f32_e32 v153, v154, v153
	v_dual_add_f32 v3, v3, v138 :: v_dual_fmamk_f32 v134, v38, 0x3f3d2fb0, v97
	v_dual_add_f32 v157, v157, v160 :: v_dual_fmamk_f32 v138, v39, 0x3ee437d1, v128
	v_dual_fmamk_f32 v136, v78, 0x3eb8f4ab, v20 :: v_dual_add_f32 v161, v161, v162
	v_add_f32_e32 v9, v9, v137
	v_dual_fmamk_f32 v137, v27, 0xbf59a7d5, v91 :: v_dual_add_f32 v138, v156, v138
	v_add_f32_e32 v165, v2, v7
	v_dual_fmamk_f32 v7, v33, 0x3dbcf732, v123 :: v_dual_add_f32 v134, v150, v134
	v_fmamk_f32 v156, v87, 0xbf2c7751, v139
	v_fmamk_f32 v155, v38, 0x3ee437d1, v109
	v_fmac_f32_e32 v139, 0x3f2c7751, v87
	s_delay_alu instid0(VALU_DEP_4) | instskip(NEXT) | instid1(VALU_DEP_4)
	v_dual_fmamk_f32 v162, v28, 0x3dbcf732, v94 :: v_dual_add_f32 v1, v134, v1
	v_add_f32_e32 v156, v161, v156
	v_fma_f32 v140, 0x3f3d2fb0, v39, -v140
	v_dual_fmac_f32 v6, 0x3f4c4adb, v87 :: v_dual_add_f32 v3, v3, v5
	v_fmamk_f32 v161, v33, 0xbf59a7d5, v107
	v_add_f32_e32 v9, v9, v139
	v_fmamk_f32 v139, v38, 0xbf7ba420, v129
	v_dual_fmamk_f32 v5, v27, 0x3f3d2fb0, v104 :: v_dual_add_f32 v4, v4, v155
	v_dual_fmamk_f32 v160, v76, 0x3f7ee86f, v23 :: v_dual_add_f32 v157, v157, v163
	;; [unrolled: 1-line block ×4, first 2 shown]
	v_dual_add_f32 v6, v149, v159 :: v_dual_fmamk_f32 v149, v72, 0xbf2c7751, v103
	v_add_f32_e32 v138, v138, v139
	v_fmamk_f32 v139, v86, 0x3f4c4adb, v141
	v_dual_fmamk_f32 v155, v38, 0xbf1a4643, v142 :: v_dual_add_f32 v4, v4, v161
	v_fmac_f32_e32 v141, 0xbf4c4adb, v86
	v_fma_f32 v142, 0xbf1a4643, v38, -v142
	v_fmamk_f32 v140, v76, 0xbf4c4adb, v105
	v_dual_fmamk_f32 v2, v78, 0xbf7ee86f, v121 :: v_dual_add_f32 v3, v3, v163
	v_add_f32_e32 v152, v152, v155
	v_dual_fmamk_f32 v155, v72, 0x3f4c4adb, v117 :: v_dual_add_f32 v6, v6, v136
	v_add_f32_e32 v9, v9, v141
	v_dual_add_f32 v135, v135, v142 :: v_dual_fmamk_f32 v136, v33, 0xbf7ba420, v12
	v_add_f32_e32 v7, v138, v7
	v_fmamk_f32 v138, v78, 0xbf65296c, v143
	v_fmac_f32_e32 v143, 0x3f65296c, v78
	v_dual_fmamk_f32 v150, v86, 0x3eb8f4ab, v10 :: v_dual_add_f32 v3, v3, v140
	v_dual_mul_f32 v133, 0xbf763a35, v77 :: v_dual_mul_f32 v146, 0xbf763a35, v79
	s_delay_alu instid0(VALU_DEP_2)
	v_dual_add_f32 v9, v9, v143 :: v_dual_add_f32 v150, v151, v150
	v_add_f32_e32 v139, v156, v139
	v_fmamk_f32 v156, v28, 0x3f6eb680, v120
	v_fmamk_f32 v142, v78, 0x3e3c28d5, v11
	;; [unrolled: 1-line block ×3, first 2 shown]
	v_dual_add_f32 v6, v6, v160 :: v_dual_fmac_f32 v11, 0xbe3c28d5, v78
	s_delay_alu instid0(VALU_DEP_4) | instskip(NEXT) | instid1(VALU_DEP_4)
	v_add_f32_e32 v7, v7, v156
	v_dual_fmamk_f32 v159, v72, 0x3f763a35, v132 :: v_dual_add_f32 v142, v150, v142
	v_fmamk_f32 v150, v33, 0x3ee437d1, v144
	v_fma_f32 v144, 0x3ee437d1, v33, -v144
	v_dual_fmamk_f32 v0, v28, 0xbf1a4643, v106 :: v_dual_fmamk_f32 v141, v27, 0xbf1a4643, v119
	v_fmamk_f32 v143, v27, 0x3dbcf732, v148
	v_fma_f32 v161, 0x3f6eb680, v38, -v8
	s_delay_alu instid0(VALU_DEP_4)
	v_dual_add_f32 v8, v135, v144 :: v_dual_add_f32 v135, v1, v162
	v_dual_fmamk_f32 v151, v76, 0x3eb8f4ab, v118 :: v_dual_add_f32 v154, v157, v154
	v_add_f32_e32 v1, v6, v158
	v_dual_add_f32 v150, v152, v150 :: v_dual_add_f32 v3, v3, v149
	v_dual_add_f32 v138, v139, v138 :: v_dual_fmamk_f32 v139, v28, 0xbe8c1d8e, v146
	v_fmamk_f32 v134, v76, 0xbf2c7751, v13
	v_dual_fmamk_f32 v157, v28, 0x3f3d2fb0, v131 :: v_dual_add_f32 v2, v153, v2
	v_dual_fmamk_f32 v153, v27, 0xbe8c1d8e, v133 :: v_dual_add_f32 v136, v154, v136
	v_fma_f32 v146, 0xbe8c1d8e, v28, -v146
	v_dual_add_f32 v4, v4, v0 :: v_dual_add_f32 v139, v150, v139
	v_add_f32_e32 v134, v142, v134
	v_fmamk_f32 v154, v76, 0x3f763a35, v145
	v_dual_fmac_f32 v145, 0xbf763a35, v76 :: v_dual_add_f32 v140, v2, v151
	v_add_f32_e32 v144, v8, v146
	v_add_f32_e32 v0, v135, v137
	;; [unrolled: 1-line block ×3, first 2 shown]
	s_delay_alu instid0(VALU_DEP_4)
	v_add_f32_e32 v142, v9, v145
	v_fmamk_f32 v152, v72, 0xbf7ee86f, v147
	v_fma_f32 v12, 0xbf7ba420, v33, -v12
	v_fmac_f32_e32 v147, 0x3f7ee86f, v72
	v_dual_mul_f32 v139, 0xbf4c4adb, v90 :: v_dual_add_f32 v2, v4, v5
	v_fmac_f32_e32 v132, 0xbf763a35, v72
	v_dual_add_f32 v4, v7, v141 :: v_dual_add_f32 v7, v134, v159
	v_dual_mul_f32 v143, 0xbeb8f4ab, v88 :: v_dual_add_f32 v134, v165, v161
	v_fma_f32 v131, 0x3f3d2fb0, v28, -v131
	v_dual_fmac_f32 v10, 0xbeb8f4ab, v86 :: v_dual_add_f32 v5, v140, v155
	v_mul_f32_e32 v140, 0x3f763a35, v89
	s_delay_alu instid0(VALU_DEP_4) | instskip(SKIP_3) | instid1(VALU_DEP_4)
	v_add_f32_e32 v12, v134, v12
	v_dual_add_f32 v138, v138, v154 :: v_dual_fmac_f32 v13, 0x3f2c7751, v76
	v_add_f32_e32 v136, v136, v157
	v_fma_f32 v135, 0x3dbcf732, v27, -v148
	v_dual_add_f32 v12, v12, v131 :: v_dual_mul_f32 v137, 0xbf2c7751, v78
	v_fmamk_f32 v131, v45, 0xbf1a4643, v139
	v_fma_f32 v141, 0xbe8c1d8e, v27, -v133
	v_dual_fmamk_f32 v133, v43, 0xbe8c1d8e, v140 :: v_dual_add_f32 v6, v136, v153
	v_mul_f32_e32 v145, 0x3f7ee86f, v86
	s_delay_alu instid0(VALU_DEP_4) | instskip(SKIP_2) | instid1(VALU_DEP_3)
	v_dual_add_f32 v131, v35, v131 :: v_dual_add_f32 v10, v164, v10
	v_fma_f32 v123, 0x3dbcf732, v33, -v123
	v_fmac_f32_e32 v19, 0xbf7ee86f, v90
	v_dual_fmamk_f32 v146, v30, 0x3dbcf732, v145 :: v_dual_add_f32 v131, v131, v133
	s_delay_alu instid0(VALU_DEP_4)
	v_add_f32_e32 v136, v10, v11
	v_add_f32_e32 v10, v144, v135
	v_fmamk_f32 v135, v32, 0x3f6eb680, v143
	v_mul_f32_e32 v144, 0xbf06c442, v87
	v_dual_add_f32 v11, v142, v147 :: v_dual_mul_f32 v142, 0xbf4c4adb, v85
	v_add_f32_e32 v19, v35, v19
	s_delay_alu instid0(VALU_DEP_4) | instskip(NEXT) | instid1(VALU_DEP_4)
	v_add_f32_e32 v131, v131, v135
	v_fmamk_f32 v135, v31, 0xbf59a7d5, v144
	v_add_f32_e32 v13, v136, v13
	v_fma_f32 v134, 0xbf1a4643, v44, -v142
	v_dual_mul_f32 v133, 0xbeb8f4ab, v83 :: v_dual_add_f32 v12, v12, v141
	v_fmac_f32_e32 v15, 0xbf763a35, v90
	s_delay_alu instid0(VALU_DEP_3) | instskip(SKIP_3) | instid1(VALU_DEP_4)
	v_dual_add_f32 v131, v131, v135 :: v_dual_add_f32 v134, v34, v134
	v_mul_f32_e32 v135, 0x3f7ee86f, v81
	v_fmac_f32_e32 v18, 0xbe3c28d5, v89
	v_fma_f32 v116, 0x3dbcf732, v44, -v116
	v_add_f32_e32 v131, v131, v146
	v_dual_add_f32 v13, v13, v132 :: v_dual_fmamk_f32 v146, v26, 0x3f3d2fb0, v137
	v_mul_f32_e32 v132, 0x3f763a35, v84
	v_add_f32_e32 v9, v138, v152
	v_fma_f32 v138, 0x3f6eb680, v41, -v133
	v_fma_f32 v130, 0xbe8c1d8e, v44, -v130
	v_add_f32_e32 v141, v131, v146
	v_fma_f32 v136, 0xbe8c1d8e, v42, -v132
	v_dual_add_f32 v18, v19, v18 :: v_dual_fmac_f32 v115, 0x3eb8f4ab, v87
	v_dual_add_f32 v116, v34, v116 :: v_dual_fmac_f32 v21, 0x3f2c7751, v86
	s_delay_alu instid0(VALU_DEP_3)
	v_dual_add_f32 v136, v134, v136 :: v_dual_mul_f32 v131, 0xbe3c28d5, v79
	v_dual_mul_f32 v134, 0xbf06c442, v82 :: v_dual_add_f32 v15, v35, v15
	v_fma_f32 v112, 0xbf7ba420, v42, -v112
	v_fma_f32 v97, 0x3f3d2fb0, v38, -v97
	v_fmac_f32_e32 v114, 0x3f763a35, v88
	v_add_f32_e32 v136, v136, v138
	v_fma_f32 v147, 0xbf59a7d5, v39, -v134
	v_dual_add_f32 v130, v34, v130 :: v_dual_fmac_f32 v125, 0xbf65296c, v87
	v_fma_f32 v126, 0xbf59a7d5, v42, -v126
	v_dual_add_f32 v18, v18, v114 :: v_dual_fmac_f32 v117, 0xbf4c4adb, v72
	v_fmac_f32_e32 v14, 0x3f06c442, v89
	v_add_f32_e32 v112, v116, v112
	v_fma_f32 v110, 0xbe8c1d8e, v41, -v110
	v_dual_add_f32 v147, v136, v147 :: v_dual_mul_f32 v136, 0xbf2c7751, v80
	v_dual_fmac_f32 v124, 0x3f2c7751, v88 :: v_dual_add_f32 v115, v18, v115
	v_add_f32_e32 v14, v15, v14
	v_add_f32_e32 v15, v130, v126
	v_fma_f32 v126, 0x3f3d2fb0, v41, -v127
	v_dual_add_f32 v110, v112, v110 :: v_dual_fmac_f32 v23, 0xbf7ee86f, v76
	v_fma_f32 v111, 0x3f6eb680, v39, -v111
	v_fmac_f32_e32 v98, 0xbf65296c, v90
	v_fma_f32 v102, 0x3ee437d1, v44, -v102
	v_mul_f32_e32 v138, 0xbe3c28d5, v76
	v_dual_add_f32 v14, v14, v124 :: v_dual_fmac_f32 v113, 0xbf65296c, v86
	v_dual_add_f32 v124, v15, v126 :: v_dual_fmac_f32 v95, 0xbf4c4adb, v89
	v_fma_f32 v126, 0x3ee437d1, v39, -v128
	v_add_f32_e32 v110, v110, v111
	v_fma_f32 v109, 0x3ee437d1, v38, -v109
	v_add_f32_e32 v98, v35, v98
	v_add_f32_e32 v102, v34, v102
	v_fma_f32 v101, 0xbf1a4643, v42, -v101
	v_fma_f32 v148, 0x3dbcf732, v38, -v135
	v_dual_fmamk_f32 v146, v25, 0xbf7ba420, v138 :: v_dual_add_f32 v125, v14, v125
	v_dual_mul_f32 v130, 0x3f65296c, v77 :: v_dual_add_f32 v95, v98, v95
	v_dual_fmac_f32 v122, 0xbe3c28d5, v86 :: v_dual_add_f32 v109, v110, v109
	v_dual_add_f32 v124, v124, v126 :: v_dual_fmac_f32 v93, 0x3e3c28d5, v88
	v_fma_f32 v126, 0xbf7ba420, v38, -v129
	v_fma_f32 v107, 0xbf59a7d5, v33, -v107
	v_add_f32_e32 v98, v102, v101
	v_fma_f32 v100, 0xbf7ba420, v41, -v100
	v_add_f32_e32 v147, v147, v148
	v_fma_f32 v148, 0x3f3d2fb0, v33, -v136
	v_dual_add_f32 v122, v125, v122 :: v_dual_add_f32 v93, v95, v93
	v_dual_add_f32 v124, v124, v126 :: v_dual_add_f32 v101, v109, v107
	v_fmac_f32_e32 v92, 0x3f763a35, v87
	v_fma_f32 v95, 0xbf1a4643, v28, -v106
	v_add_f32_e32 v98, v98, v100
	v_fma_f32 v99, 0xbe8c1d8e, v39, -v99
	v_dual_add_f32 v141, v141, v146 :: v_dual_add_f32 v146, v147, v148
	v_fma_f32 v147, 0xbf7ba420, v28, -v131
	v_fmac_f32_e32 v118, 0xbeb8f4ab, v76
	v_add_f32_e32 v92, v93, v92
	v_add_f32_e32 v93, v101, v95
	;; [unrolled: 1-line block ×3, first 2 shown]
	v_dual_add_f32 v146, v146, v147 :: v_dual_fmac_f32 v121, 0x3f7ee86f, v78
	s_delay_alu instid0(VALU_DEP_4) | instskip(NEXT) | instid1(VALU_DEP_3)
	v_dual_mul_f32 v147, 0x3f65296c, v72 :: v_dual_add_f32 v92, v92, v21
	v_dual_fmac_f32 v20, 0xbeb8f4ab, v78 :: v_dual_add_f32 v95, v95, v97
	v_fma_f32 v96, 0x3f6eb680, v33, -v96
	s_delay_alu instid0(VALU_DEP_3)
	v_fmamk_f32 v127, v24, 0x3ee437d1, v147
	v_fmac_f32_e32 v108, 0xbf06c442, v78
	v_fma_f32 v98, 0x3f3d2fb0, v27, -v104
	v_add_f32_e32 v92, v92, v20
	v_add_f32_e32 v95, v95, v96
	v_fma_f32 v94, 0x3dbcf732, v28, -v94
	v_add_f32_e32 v15, v141, v127
	v_fma_f32 v127, 0x3ee437d1, v27, -v130
	v_dual_add_f32 v112, v115, v113 :: v_dual_add_f32 v23, v92, v23
	v_add_f32_e32 v20, v93, v98
	v_dual_add_f32 v92, v95, v94 :: v_dual_mul_f32 v107, 0x3f763a35, v80
	v_fmac_f32_e32 v22, 0xbf06c442, v72
	v_fma_f32 v91, 0xbf59a7d5, v27, -v91
	v_mul_f32_e32 v98, 0xbf2c7751, v85
	v_dual_add_f32 v14, v146, v127 :: v_dual_fmac_f32 v105, 0x3f4c4adb, v76
	s_delay_alu instid0(VALU_DEP_4) | instskip(NEXT) | instid1(VALU_DEP_4)
	v_dual_add_f32 v108, v112, v108 :: v_dual_add_f32 v23, v23, v22
	v_add_f32_e32 v22, v92, v91
	s_delay_alu instid0(VALU_DEP_4) | instskip(SKIP_1) | instid1(VALU_DEP_4)
	v_fma_f32 v91, 0x3f3d2fb0, v44, -v98
	v_mul_f32_e32 v92, 0xbf7ee86f, v84
	v_add_f32_e32 v100, v108, v105
	v_mul_f32_e32 v102, 0xbf4c4adb, v83
	s_delay_alu instid0(VALU_DEP_4) | instskip(NEXT) | instid1(VALU_DEP_4)
	v_dual_mul_f32 v104, 0xbe3c28d5, v82 :: v_dual_add_f32 v91, v34, v91
	v_fma_f32 v101, 0x3dbcf732, v42, -v92
	v_mul_f32_e32 v106, 0x3f06c442, v81
	v_dual_add_f32 v121, v122, v121 :: v_dual_add_f32 v122, v124, v123
	v_fma_f32 v19, 0x3f6eb680, v28, -v120
	s_delay_alu instid0(VALU_DEP_4) | instskip(SKIP_1) | instid1(VALU_DEP_4)
	v_add_f32_e32 v91, v91, v101
	v_fma_f32 v101, 0xbf1a4643, v41, -v102
	v_dual_add_f32 v118, v121, v118 :: v_dual_fmac_f32 v103, 0x3f2c7751, v72
	s_delay_alu instid0(VALU_DEP_4) | instskip(NEXT) | instid1(VALU_DEP_3)
	v_dual_add_f32 v114, v122, v19 :: v_dual_mul_f32 v97, 0xbf2c7751, v90
	v_add_f32_e32 v91, v91, v101
	v_fma_f32 v101, 0xbf7ba420, v39, -v104
	v_fma_f32 v18, 0xbf1a4643, v27, -v119
	v_mul_f32_e32 v96, 0xbf7ee86f, v89
	v_mul_f32_e32 v89, 0xbf2c7751, v89
	v_add_f32_e32 v21, v100, v103
	v_add_f32_e32 v91, v91, v101
	v_fma_f32 v101, 0xbf59a7d5, v38, -v106
	v_dual_add_f32 v18, v114, v18 :: v_dual_fmamk_f32 v93, v45, 0x3f3d2fb0, v97
	v_fmamk_f32 v109, v43, 0x3f3d2fb0, v89
	v_mul_f32_e32 v95, 0xbf4c4adb, v88
	s_delay_alu instid0(VALU_DEP_4) | instskip(SKIP_4) | instid1(VALU_DEP_4)
	v_add_f32_e32 v91, v91, v101
	v_fma_f32 v101, 0xbe8c1d8e, v33, -v107
	v_dual_mul_f32 v100, 0x3f06c442, v86 :: v_dual_add_f32 v93, v35, v93
	v_mul_f32_e32 v99, 0xbe3c28d5, v87
	v_mul_f32_e32 v111, 0xbf7ee86f, v87
	v_add_f32_e32 v91, v91, v101
	v_mul_f32_e32 v101, 0x3eb8f4ab, v72
	v_add_f32_e32 v51, v35, v51
	v_add_f32_e32 v75, v34, v75
	v_mul_f32_e32 v103, 0x3f763a35, v78
	v_mul_f32_e32 v105, 0x3f65296c, v76
	v_fmamk_f32 v87, v24, 0x3f6eb680, v101
	v_fmamk_f32 v94, v43, 0x3dbcf732, v96
	v_add_f32_e32 v50, v51, v50
	v_add_f32_e32 v51, v75, v74
	v_dual_mul_f32 v90, 0xbeb8f4ab, v90 :: v_dual_mul_f32 v85, 0xbeb8f4ab, v85
	s_delay_alu instid0(VALU_DEP_4) | instskip(NEXT) | instid1(VALU_DEP_3)
	v_dual_add_f32 v93, v93, v94 :: v_dual_fmamk_f32 v94, v32, 0xbf1a4643, v95
	v_dual_add_f32 v51, v51, v73 :: v_dual_mul_f32 v88, 0xbf65296c, v88
	v_mul_f32_e32 v73, 0xbf4c4adb, v78
	v_fmac_f32_e32 v133, 0x3f6eb680, v41
	s_delay_alu instid0(VALU_DEP_4) | instskip(NEXT) | instid1(VALU_DEP_3)
	v_dual_add_f32 v93, v93, v94 :: v_dual_fmamk_f32 v94, v31, 0xbf7ba420, v99
	v_dual_add_f32 v51, v51, v71 :: v_dual_fmamk_f32 v78, v26, 0xbf1a4643, v73
	v_fmac_f32_e32 v131, 0xbf7ba420, v28
	s_delay_alu instid0(VALU_DEP_3) | instskip(NEXT) | instid1(VALU_DEP_3)
	v_dual_fmac_f32 v130, 0x3ee437d1, v27 :: v_dual_add_f32 v93, v93, v94
	v_dual_fmamk_f32 v94, v30, 0xbf59a7d5, v100 :: v_dual_add_f32 v51, v51, v70
	v_mul_f32_e32 v108, 0x3f65296c, v79
	v_fmac_f32_e32 v135, 0x3dbcf732, v38
	s_delay_alu instid0(VALU_DEP_3) | instskip(NEXT) | instid1(VALU_DEP_4)
	v_dual_fmac_f32 v142, 0xbf1a4643, v44 :: v_dual_add_f32 v93, v93, v94
	v_dual_fmamk_f32 v94, v26, 0xbe8c1d8e, v103 :: v_dual_add_f32 v51, v51, v69
	v_mul_f32_e32 v112, 0x3eb8f4ab, v77
	v_fma_f32 v110, 0x3ee437d1, v28, -v108
	v_fmac_f32_e32 v132, 0xbe8c1d8e, v42
	s_delay_alu instid0(VALU_DEP_4) | instskip(SKIP_1) | instid1(VALU_DEP_4)
	v_add_f32_e32 v93, v93, v94
	v_dual_fmamk_f32 v94, v25, 0x3ee437d1, v105 :: v_dual_add_f32 v51, v51, v68
	v_dual_mul_f32 v68, 0xbf06c442, v76 :: v_dual_add_f32 v91, v91, v110
	v_fmac_f32_e32 v107, 0xbe8c1d8e, v33
	s_delay_alu instid0(VALU_DEP_3) | instskip(NEXT) | instid1(VALU_DEP_4)
	v_add_f32_e32 v93, v93, v94
	v_dual_fmamk_f32 v94, v45, 0x3f6eb680, v90 :: v_dual_add_f32 v51, v51, v67
	s_delay_alu instid0(VALU_DEP_4) | instskip(SKIP_1) | instid1(VALU_DEP_3)
	v_dual_fmamk_f32 v67, v25, 0xbf59a7d5, v68 :: v_dual_add_f32 v50, v50, v52
	v_mul_f32_e32 v110, 0xbf763a35, v86
	v_dual_add_f32 v94, v35, v94 :: v_dual_add_f32 v51, v66, v51
	v_fmac_f32_e32 v136, 0x3f3d2fb0, v33
	s_delay_alu instid0(VALU_DEP_4) | instskip(SKIP_1) | instid1(VALU_DEP_4)
	v_add_f32_e32 v50, v50, v54
	v_mul_f32_e32 v71, 0xbf7ee86f, v82
	v_dual_fmac_f32 v92, 0x3dbcf732, v42 :: v_dual_add_f32 v51, v65, v51
	v_fmac_f32_e32 v98, 0x3f3d2fb0, v44
	s_delay_alu instid0(VALU_DEP_4) | instskip(NEXT) | instid1(VALU_DEP_4)
	v_add_f32_e32 v50, v50, v56
	v_fma_f32 v56, 0x3dbcf732, v39, -v71
	v_fmac_f32_e32 v71, 0x3dbcf732, v39
	v_dual_add_f32 v51, v64, v51 :: v_dual_fmac_f32 v102, 0xbf1a4643, v41
	s_delay_alu instid0(VALU_DEP_4) | instskip(SKIP_2) | instid1(VALU_DEP_3)
	v_add_f32_e32 v50, v50, v58
	v_fmac_f32_e32 v106, 0xbf59a7d5, v38
	v_dual_fmac_f32 v108, 0x3ee437d1, v28 :: v_dual_add_f32 v19, v118, v117
	v_add_f32_e32 v50, v50, v60
	s_delay_alu instid0(VALU_DEP_1) | instskip(SKIP_1) | instid1(VALU_DEP_2)
	v_add_f32_e32 v50, v50, v63
	v_dual_mul_f32 v63, 0xbf06c442, v79 :: v_dual_add_f32 v94, v94, v109
	v_dual_fmamk_f32 v109, v32, 0x3ee437d1, v88 :: v_dual_add_f32 v50, v61, v50
	s_delay_alu instid0(VALU_DEP_1) | instskip(NEXT) | instid1(VALU_DEP_2)
	v_dual_add_f32 v94, v94, v109 :: v_dual_fmamk_f32 v109, v31, 0x3dbcf732, v111
	v_add_f32_e32 v50, v57, v50
	s_delay_alu instid0(VALU_DEP_2) | instskip(SKIP_2) | instid1(VALU_DEP_4)
	v_add_f32_e32 v86, v94, v109
	v_fmamk_f32 v94, v30, 0xbe8c1d8e, v110
	v_fma_f32 v109, 0x3f6eb680, v44, -v85
	v_add_f32_e32 v50, v53, v50
	v_fma_f32 v53, 0xbf1a4643, v45, -v139
	v_mul_f32_e32 v52, 0xbf65296c, v83
	v_add_f32_e32 v74, v86, v94
	s_delay_alu instid0(VALU_DEP_4) | instskip(NEXT) | instid1(VALU_DEP_4)
	v_dual_add_f32 v75, v34, v109 :: v_dual_add_f32 v48, v48, v50
	v_add_f32_e32 v53, v35, v53
	s_delay_alu instid0(VALU_DEP_4) | instskip(NEXT) | instid1(VALU_DEP_4)
	v_fma_f32 v54, 0x3ee437d1, v41, -v52
	v_add_f32_e32 v58, v74, v78
	v_mul_f32_e32 v84, 0xbf2c7751, v84
	v_add_f32_e32 v50, v62, v51
	v_fma_f32 v62, 0xbe8c1d8e, v43, -v140
	v_add_f32_e32 v46, v46, v48
	v_add_f32_e32 v57, v58, v67
	v_fma_f32 v86, 0x3f3d2fb0, v42, -v84
	s_delay_alu instid0(VALU_DEP_4) | instskip(SKIP_1) | instid1(VALU_DEP_3)
	v_dual_mul_f32 v70, 0xbf763a35, v81 :: v_dual_add_f32 v53, v53, v62
	v_dual_add_f32 v48, v59, v50 :: v_dual_fmac_f32 v85, 0x3f6eb680, v44
	v_add_f32_e32 v75, v75, v86
	v_fma_f32 v59, 0x3f6eb680, v32, -v143
	s_delay_alu instid0(VALU_DEP_3) | instskip(SKIP_1) | instid1(VALU_DEP_4)
	v_dual_add_f32 v37, v37, v46 :: v_dual_add_f32 v46, v55, v48
	v_fmac_f32_e32 v104, 0xbf7ba420, v39
	v_add_f32_e32 v54, v75, v54
	s_delay_alu instid0(VALU_DEP_4)
	v_add_f32_e32 v48, v53, v59
	v_fma_f32 v53, 0xbf59a7d5, v31, -v144
	v_add_f32_e32 v29, v29, v37
	v_fma_f32 v37, 0x3f3d2fb0, v45, -v97
	;; [unrolled: 2-line block ×3, first 2 shown]
	v_mul_f32_e32 v60, 0xbf4c4adb, v80
	v_add_f32_e32 v48, v48, v53
	v_fma_f32 v53, 0x3dbcf732, v30, -v145
	v_add_f32_e32 v37, v35, v37
	v_fma_f32 v55, 0x3dbcf732, v43, -v96
	;; [unrolled: 2-line block ×3, first 2 shown]
	v_dual_add_f32 v48, v48, v53 :: v_dual_add_f32 v87, v93, v87
	s_delay_alu instid0(VALU_DEP_4) | instskip(NEXT) | instid1(VALU_DEP_3)
	v_add_f32_e32 v53, v37, v55
	v_dual_add_f32 v37, v36, v29 :: v_dual_add_f32 v54, v54, v56
	v_fma_f32 v56, 0xbf59a7d5, v28, -v63
	v_fma_f32 v29, 0x3f3d2fb0, v26, -v137
	;; [unrolled: 1-line block ×3, first 2 shown]
	v_add_f32_e32 v46, v49, v46
	v_fmac_f32_e32 v84, 0x3f3d2fb0, v42
	v_add_f32_e32 v54, v54, v56
	v_dual_mul_f32 v56, 0xbe3c28d5, v72 :: v_dual_add_f32 v29, v48, v29
	v_fma_f32 v48, 0xbf7ba420, v25, -v138
	v_mul_f32_e32 v58, 0xbe3c28d5, v77
	v_fmac_f32_e32 v63, 0xbf59a7d5, v28
	s_delay_alu instid0(VALU_DEP_4) | instskip(NEXT) | instid1(VALU_DEP_4)
	v_fmamk_f32 v61, v24, 0xbf7ba420, v56
	v_dual_fmac_f32 v52, 0x3ee437d1, v41 :: v_dual_add_f32 v29, v29, v48
	v_fma_f32 v48, 0xbe8c1d8e, v26, -v103
	v_fma_f32 v26, 0xbf1a4643, v26, -v73
	s_delay_alu instid0(VALU_DEP_4) | instskip(SKIP_4) | instid1(VALU_DEP_4)
	v_add_f32_e32 v51, v57, v61
	v_fma_f32 v57, 0xbf7ba420, v27, -v58
	v_dual_fmac_f32 v134, 0xbf59a7d5, v39 :: v_dual_add_nc_u32 v39, 52, v40
	v_fmac_f32_e32 v70, 0xbe8c1d8e, v38
	v_fmac_f32_e32 v60, 0xbf1a4643, v33
	v_add_f32_e32 v50, v54, v57
	v_add_f32_e32 v54, v34, v142
	v_fmac_f32_e32 v112, 0x3f6eb680, v27
	v_fmac_f32_e32 v58, 0xbf7ba420, v27
	s_delay_alu instid0(VALU_DEP_3) | instskip(NEXT) | instid1(VALU_DEP_1)
	v_add_f32_e32 v54, v54, v132
	v_add_f32_e32 v49, v54, v133
	v_fma_f32 v54, 0xbf1a4643, v32, -v95
	v_add_f32_e32 v86, v91, v93
	v_fma_f32 v32, 0x3ee437d1, v32, -v88
	s_delay_alu instid0(VALU_DEP_4) | instskip(NEXT) | instid1(VALU_DEP_4)
	v_add_f32_e32 v36, v49, v134
	v_add_f32_e32 v49, v53, v54
	v_fma_f32 v53, 0xbf7ba420, v31, -v99
	v_fma_f32 v31, 0x3dbcf732, v31, -v111
	s_delay_alu instid0(VALU_DEP_4) | instskip(NEXT) | instid1(VALU_DEP_3)
	v_add_f32_e32 v54, v36, v135
	v_dual_add_f32 v36, v47, v46 :: v_dual_add_f32 v49, v49, v53
	v_fma_f32 v53, 0xbf59a7d5, v30, -v100
	v_fma_f32 v30, 0xbe8c1d8e, v30, -v110
	s_delay_alu instid0(VALU_DEP_2) | instskip(SKIP_3) | instid1(VALU_DEP_4)
	v_add_f32_e32 v47, v49, v53
	v_fma_f32 v49, 0x3ee437d1, v24, -v147
	v_fma_f32 v42, 0xbf7ba420, v24, -v56
	v_add_f32_e32 v46, v54, v136
	v_dual_add_f32 v54, v34, v98 :: v_dual_add_f32 v47, v47, v48
	v_fma_f32 v48, 0x3ee437d1, v25, -v105
	v_add_f32_e32 v34, v34, v85
	s_delay_alu instid0(VALU_DEP_4) | instskip(SKIP_1) | instid1(VALU_DEP_4)
	v_dual_add_f32 v53, v46, v131 :: v_dual_add_f32 v46, v29, v49
	v_fma_f32 v29, 0x3f6eb680, v45, -v90
	v_add_f32_e32 v47, v47, v48
	s_delay_alu instid0(VALU_DEP_2) | instskip(SKIP_1) | instid1(VALU_DEP_2)
	v_dual_add_f32 v48, v54, v92 :: v_dual_add_f32 v29, v35, v29
	v_fma_f32 v35, 0x3f3d2fb0, v43, -v89
	v_add_f32_e32 v44, v48, v102
	v_fma_f32 v43, 0x3f6eb680, v24, -v101
	s_delay_alu instid0(VALU_DEP_3) | instskip(NEXT) | instid1(VALU_DEP_3)
	v_add_f32_e32 v29, v29, v35
	v_add_f32_e32 v35, v44, v104
	s_delay_alu instid0(VALU_DEP_2) | instskip(SKIP_1) | instid1(VALU_DEP_2)
	v_add_f32_e32 v29, v29, v32
	v_add_f32_e32 v32, v34, v84
	v_dual_add_f32 v34, v35, v106 :: v_dual_add_f32 v31, v29, v31
	s_delay_alu instid0(VALU_DEP_2) | instskip(NEXT) | instid1(VALU_DEP_2)
	v_add_f32_e32 v32, v32, v52
	v_add_f32_e32 v34, v34, v107
	;; [unrolled: 1-line block ×3, first 2 shown]
	v_add_co_u32 v43, vcc_lo, s10, v16
	v_add_f32_e32 v35, v31, v30
	v_mad_u64_u32 v[30:31], null, s8, v40, 0
	v_add_f32_e32 v32, v32, v71
	s_delay_alu instid0(VALU_DEP_3) | instskip(SKIP_2) | instid1(VALU_DEP_4)
	v_dual_add_f32 v34, v34, v108 :: v_dual_add_f32 v33, v35, v26
	v_fma_f32 v35, 0xbf59a7d5, v25, -v68
	v_add_co_ci_u32_e32 v44, vcc_lo, s11, v17, vcc_lo
	v_dual_add_f32 v32, v32, v70 :: v_dual_mov_b32 v25, v31
	s_delay_alu instid0(VALU_DEP_4) | instskip(NEXT) | instid1(VALU_DEP_4)
	v_add_f32_e32 v28, v34, v112
	v_dual_add_f32 v41, v33, v35 :: v_dual_add_nc_u32 v34, 0x68, v40
	s_delay_alu instid0(VALU_DEP_3) | instskip(NEXT) | instid1(VALU_DEP_4)
	v_add_f32_e32 v38, v32, v60
	v_mad_u64_u32 v[31:32], null, s9, v40, v[25:26]
	v_mad_u64_u32 v[25:26], null, s8, v39, 0
	s_delay_alu instid0(VALU_DEP_4) | instskip(NEXT) | instid1(VALU_DEP_4)
	v_mad_u64_u32 v[32:33], null, s8, v34, 0
	v_dual_add_f32 v38, v38, v63 :: v_dual_add_nc_u32 v47, 0x138, v40
	s_delay_alu instid0(VALU_DEP_4) | instskip(NEXT) | instid1(VALU_DEP_4)
	v_lshlrev_b64 v[16:17], 3, v[30:31]
	v_mov_b32_e32 v24, v26
	s_delay_alu instid0(VALU_DEP_2) | instskip(NEXT) | instid1(VALU_DEP_2)
	v_add_co_u32 v16, vcc_lo, v43, v16
	v_mad_u64_u32 v[26:27], null, s9, v39, v[24:25]
	v_dual_mov_b32 v24, v33 :: v_dual_add_nc_u32 v27, 0x9c, v40
	v_add_co_ci_u32_e32 v17, vcc_lo, v44, v17, vcc_lo
	v_add_f32_e32 v39, v41, v42
	s_delay_alu instid0(VALU_DEP_3) | instskip(NEXT) | instid1(VALU_DEP_4)
	v_mad_u64_u32 v[30:31], null, s9, v34, v[24:25]
	v_mad_u64_u32 v[34:35], null, s8, v27, 0
	v_add_nc_u32_e32 v41, 0xd0, v40
	global_store_b64 v[16:17], v[36:37], off
	v_lshlrev_b64 v[16:17], 3, v[25:26]
	v_dual_mov_b32 v33, v30 :: v_dual_add_nc_u32 v42, 0x104, v40
	v_mad_u64_u32 v[25:26], null, s8, v41, 0
	v_mov_b32_e32 v24, v35
	s_delay_alu instid0(VALU_DEP_4) | instskip(NEXT) | instid1(VALU_DEP_4)
	v_add_co_u32 v16, vcc_lo, v43, v16
	v_lshlrev_b64 v[30:31], 3, v[32:33]
	v_add_co_ci_u32_e32 v17, vcc_lo, v44, v17, vcc_lo
	s_delay_alu instid0(VALU_DEP_4)
	v_mad_u64_u32 v[32:33], null, s9, v27, v[24:25]
	v_mov_b32_e32 v24, v26
	v_mad_u64_u32 v[36:37], null, s8, v42, 0
	v_add_co_u32 v26, vcc_lo, v43, v30
	v_add_co_ci_u32_e32 v27, vcc_lo, v44, v31, vcc_lo
	v_mov_b32_e32 v35, v32
	v_mad_u64_u32 v[30:31], null, s9, v41, v[24:25]
	s_clause 0x1
	global_store_b64 v[16:17], v[50:51], off
	global_store_b64 v[26:27], v[86:87], off
	v_mad_u64_u32 v[31:32], null, s8, v47, 0
	v_lshlrev_b64 v[16:17], 3, v[34:35]
	v_dual_mov_b32 v24, v37 :: v_dual_add_nc_u32 v27, 0x16c, v40
	v_dual_mov_b32 v26, v30 :: v_dual_add_nc_u32 v35, 0x1d4, v40
	v_add_f32_e32 v45, v53, v130
	s_delay_alu instid0(VALU_DEP_3) | instskip(SKIP_3) | instid1(VALU_DEP_4)
	v_mad_u64_u32 v[33:34], null, s9, v42, v[24:25]
	v_add_co_u32 v16, vcc_lo, v43, v16
	v_add_co_ci_u32_e32 v17, vcc_lo, v44, v17, vcc_lo
	v_lshlrev_b64 v[25:26], 3, v[25:26]
	v_dual_mov_b32 v24, v32 :: v_dual_mov_b32 v37, v33
	global_store_b64 v[16:17], v[22:23], off
	v_mad_u64_u32 v[22:23], null, s8, v27, 0
	v_mad_u64_u32 v[32:33], null, s9, v47, v[24:25]
	v_add_co_u32 v24, vcc_lo, v43, v25
	v_add_co_ci_u32_e32 v25, vcc_lo, v44, v26, vcc_lo
	v_add_nc_u32_e32 v33, 0x1a0, v40
	v_lshlrev_b64 v[16:17], 3, v[36:37]
	global_store_b64 v[24:25], v[20:21], off
	v_mov_b32_e32 v20, v23
	v_lshlrev_b64 v[23:24], 3, v[31:32]
	v_mad_u64_u32 v[25:26], null, s8, v33, 0
	v_add_co_u32 v16, vcc_lo, v43, v16
	s_delay_alu instid0(VALU_DEP_4)
	v_mad_u64_u32 v[30:31], null, s9, v27, v[20:21]
	v_add_co_ci_u32_e32 v17, vcc_lo, v44, v17, vcc_lo
	v_mad_u64_u32 v[31:32], null, s8, v35, 0
	v_add_co_u32 v20, vcc_lo, v43, v23
	v_add_co_ci_u32_e32 v21, vcc_lo, v44, v24, vcc_lo
	v_dual_mov_b32 v23, v26 :: v_dual_add_nc_u32 v24, 0x208, v40
	global_store_b64 v[16:17], v[18:19], off
	v_mov_b32_e32 v16, v32
	global_store_b64 v[20:21], v[14:15], off
	v_mad_u64_u32 v[26:27], null, s9, v33, v[23:24]
	v_mad_u64_u32 v[33:34], null, s8, v24, 0
	v_mov_b32_e32 v23, v30
	v_mad_u64_u32 v[17:18], null, s9, v35, v[16:17]
	s_delay_alu instid0(VALU_DEP_4) | instskip(NEXT) | instid1(VALU_DEP_3)
	v_lshlrev_b64 v[18:19], 3, v[25:26]
	v_lshlrev_b64 v[14:15], 3, v[22:23]
	v_dual_mov_b32 v16, v34 :: v_dual_add_nc_u32 v23, 0x23c, v40
	s_delay_alu instid0(VALU_DEP_4) | instskip(NEXT) | instid1(VALU_DEP_2)
	v_mov_b32_e32 v32, v17
	v_mad_u64_u32 v[20:21], null, s9, v24, v[16:17]
	s_delay_alu instid0(VALU_DEP_4) | instskip(NEXT) | instid1(VALU_DEP_4)
	v_add_co_u32 v14, vcc_lo, v43, v14
	v_mad_u64_u32 v[21:22], null, s8, v23, 0
	v_add_co_ci_u32_e32 v15, vcc_lo, v44, v15, vcc_lo
	v_add_co_u32 v16, vcc_lo, v43, v18
	v_add_co_ci_u32_e32 v17, vcc_lo, v44, v19, vcc_lo
	v_add_nc_u32_e32 v19, 0x2d8, v40
	global_store_b64 v[14:15], v[12:13], off
	v_lshlrev_b64 v[13:14], 3, v[31:32]
	v_mov_b32_e32 v34, v20
	v_mov_b32_e32 v12, v22
	global_store_b64 v[16:17], v[10:11], off
	v_dual_add_f32 v38, v38, v58 :: v_dual_add_nc_u32 v17, 0x270, v40
	v_lshlrev_b64 v[10:11], 3, v[33:34]
	v_mad_u64_u32 v[15:16], null, s9, v23, v[12:13]
	v_add_co_u32 v12, vcc_lo, v43, v13
	v_add_co_ci_u32_e32 v13, vcc_lo, v44, v14, vcc_lo
	s_delay_alu instid0(VALU_DEP_4)
	v_add_co_u32 v10, vcc_lo, v43, v10
	v_add_co_ci_u32_e32 v11, vcc_lo, v44, v11, vcc_lo
	v_mov_b32_e32 v22, v15
	v_mad_u64_u32 v[14:15], null, s8, v17, 0
	global_store_b64 v[12:13], v[8:9], off
	v_add_nc_u32_e32 v13, 0x2a4, v40
	global_store_b64 v[10:11], v[6:7], off
	v_mad_u64_u32 v[11:12], null, s8, v19, 0
	v_lshlrev_b64 v[6:7], 3, v[21:22]
	v_mov_b32_e32 v10, v15
	v_mad_u64_u32 v[8:9], null, s8, v13, 0
	v_or_b32_e32 v21, 0x340, v40
	s_delay_alu instid0(VALU_DEP_3) | instskip(SKIP_3) | instid1(VALU_DEP_3)
	v_mad_u64_u32 v[15:16], null, s9, v17, v[10:11]
	v_add_nc_u32_e32 v10, 0x30c, v40
	v_add_co_u32 v6, vcc_lo, v43, v6
	v_add_co_ci_u32_e32 v7, vcc_lo, v44, v7, vcc_lo
	v_mad_u64_u32 v[16:17], null, s9, v13, v[9:10]
	v_mad_u64_u32 v[17:18], null, s8, v10, 0
	v_mov_b32_e32 v9, v12
	global_store_b64 v[6:7], v[45:46], off
	v_mad_u64_u32 v[12:13], null, s9, v19, v[9:10]
	v_mad_u64_u32 v[19:20], null, s8, v21, 0
	v_dual_mov_b32 v6, v18 :: v_dual_mov_b32 v9, v16
	v_lshlrev_b64 v[13:14], 3, v[14:15]
	s_delay_alu instid0(VALU_DEP_2) | instskip(NEXT) | instid1(VALU_DEP_3)
	v_mad_u64_u32 v[15:16], null, s9, v10, v[6:7]
	v_lshlrev_b64 v[7:8], 3, v[8:9]
	v_mov_b32_e32 v6, v20
	s_delay_alu instid0(VALU_DEP_4) | instskip(SKIP_1) | instid1(VALU_DEP_3)
	v_add_co_u32 v13, vcc_lo, v43, v13
	v_add_co_ci_u32_e32 v14, vcc_lo, v44, v14, vcc_lo
	v_mad_u64_u32 v[9:10], null, s9, v21, v[6:7]
	v_lshlrev_b64 v[10:11], 3, v[11:12]
	v_mov_b32_e32 v18, v15
	v_add_co_u32 v6, vcc_lo, v43, v7
	v_add_co_ci_u32_e32 v7, vcc_lo, v44, v8, vcc_lo
	v_mov_b32_e32 v20, v9
	s_delay_alu instid0(VALU_DEP_4) | instskip(SKIP_2) | instid1(VALU_DEP_4)
	v_lshlrev_b64 v[15:16], 3, v[17:18]
	v_add_co_u32 v8, vcc_lo, v43, v10
	v_add_co_ci_u32_e32 v9, vcc_lo, v44, v11, vcc_lo
	v_lshlrev_b64 v[10:11], 3, v[19:20]
	s_delay_alu instid0(VALU_DEP_4) | instskip(SKIP_1) | instid1(VALU_DEP_3)
	v_add_co_u32 v15, vcc_lo, v43, v15
	v_add_co_ci_u32_e32 v16, vcc_lo, v44, v16, vcc_lo
	v_add_co_u32 v10, vcc_lo, v43, v10
	s_delay_alu instid0(VALU_DEP_4)
	v_add_co_ci_u32_e32 v11, vcc_lo, v44, v11, vcc_lo
	s_clause 0x4
	global_store_b64 v[13:14], v[4:5], off
	global_store_b64 v[6:7], v[2:3], off
	global_store_b64 v[8:9], v[0:1], off
	global_store_b64 v[15:16], v[28:29], off
	global_store_b64 v[10:11], v[38:39], off
	s_nop 0
	s_sendmsg sendmsg(MSG_DEALLOC_VGPRS)
	s_endpgm
	.section	.rodata,"a",@progbits
	.p2align	6, 0x0
	.amdhsa_kernel fft_rtc_fwd_len884_factors_13_4_17_wgs_204_tpt_68_halfLds_sp_ip_CI_sbrr_dirReg
		.amdhsa_group_segment_fixed_size 0
		.amdhsa_private_segment_fixed_size 0
		.amdhsa_kernarg_size 88
		.amdhsa_user_sgpr_count 15
		.amdhsa_user_sgpr_dispatch_ptr 0
		.amdhsa_user_sgpr_queue_ptr 0
		.amdhsa_user_sgpr_kernarg_segment_ptr 1
		.amdhsa_user_sgpr_dispatch_id 0
		.amdhsa_user_sgpr_private_segment_size 0
		.amdhsa_wavefront_size32 1
		.amdhsa_uses_dynamic_stack 0
		.amdhsa_enable_private_segment 0
		.amdhsa_system_sgpr_workgroup_id_x 1
		.amdhsa_system_sgpr_workgroup_id_y 0
		.amdhsa_system_sgpr_workgroup_id_z 0
		.amdhsa_system_sgpr_workgroup_info 0
		.amdhsa_system_vgpr_workitem_id 0
		.amdhsa_next_free_vgpr 166
		.amdhsa_next_free_sgpr 23
		.amdhsa_reserve_vcc 1
		.amdhsa_float_round_mode_32 0
		.amdhsa_float_round_mode_16_64 0
		.amdhsa_float_denorm_mode_32 3
		.amdhsa_float_denorm_mode_16_64 3
		.amdhsa_dx10_clamp 1
		.amdhsa_ieee_mode 1
		.amdhsa_fp16_overflow 0
		.amdhsa_workgroup_processor_mode 1
		.amdhsa_memory_ordered 1
		.amdhsa_forward_progress 0
		.amdhsa_shared_vgpr_count 0
		.amdhsa_exception_fp_ieee_invalid_op 0
		.amdhsa_exception_fp_denorm_src 0
		.amdhsa_exception_fp_ieee_div_zero 0
		.amdhsa_exception_fp_ieee_overflow 0
		.amdhsa_exception_fp_ieee_underflow 0
		.amdhsa_exception_fp_ieee_inexact 0
		.amdhsa_exception_int_div_zero 0
	.end_amdhsa_kernel
	.text
.Lfunc_end0:
	.size	fft_rtc_fwd_len884_factors_13_4_17_wgs_204_tpt_68_halfLds_sp_ip_CI_sbrr_dirReg, .Lfunc_end0-fft_rtc_fwd_len884_factors_13_4_17_wgs_204_tpt_68_halfLds_sp_ip_CI_sbrr_dirReg
                                        ; -- End function
	.section	.AMDGPU.csdata,"",@progbits
; Kernel info:
; codeLenInByte = 13840
; NumSgprs: 25
; NumVgprs: 166
; ScratchSize: 0
; MemoryBound: 0
; FloatMode: 240
; IeeeMode: 1
; LDSByteSize: 0 bytes/workgroup (compile time only)
; SGPRBlocks: 3
; VGPRBlocks: 20
; NumSGPRsForWavesPerEU: 25
; NumVGPRsForWavesPerEU: 166
; Occupancy: 9
; WaveLimiterHint : 1
; COMPUTE_PGM_RSRC2:SCRATCH_EN: 0
; COMPUTE_PGM_RSRC2:USER_SGPR: 15
; COMPUTE_PGM_RSRC2:TRAP_HANDLER: 0
; COMPUTE_PGM_RSRC2:TGID_X_EN: 1
; COMPUTE_PGM_RSRC2:TGID_Y_EN: 0
; COMPUTE_PGM_RSRC2:TGID_Z_EN: 0
; COMPUTE_PGM_RSRC2:TIDIG_COMP_CNT: 0
	.text
	.p2alignl 7, 3214868480
	.fill 96, 4, 3214868480
	.type	__hip_cuid_84755f6644bd7fd8,@object ; @__hip_cuid_84755f6644bd7fd8
	.section	.bss,"aw",@nobits
	.globl	__hip_cuid_84755f6644bd7fd8
__hip_cuid_84755f6644bd7fd8:
	.byte	0                               ; 0x0
	.size	__hip_cuid_84755f6644bd7fd8, 1

	.ident	"AMD clang version 19.0.0git (https://github.com/RadeonOpenCompute/llvm-project roc-6.4.0 25133 c7fe45cf4b819c5991fe208aaa96edf142730f1d)"
	.section	".note.GNU-stack","",@progbits
	.addrsig
	.addrsig_sym __hip_cuid_84755f6644bd7fd8
	.amdgpu_metadata
---
amdhsa.kernels:
  - .args:
      - .actual_access:  read_only
        .address_space:  global
        .offset:         0
        .size:           8
        .value_kind:     global_buffer
      - .offset:         8
        .size:           8
        .value_kind:     by_value
      - .actual_access:  read_only
        .address_space:  global
        .offset:         16
        .size:           8
        .value_kind:     global_buffer
      - .actual_access:  read_only
        .address_space:  global
        .offset:         24
        .size:           8
        .value_kind:     global_buffer
      - .offset:         32
        .size:           8
        .value_kind:     by_value
      - .actual_access:  read_only
        .address_space:  global
        .offset:         40
        .size:           8
        .value_kind:     global_buffer
      - .actual_access:  read_only
        .address_space:  global
        .offset:         48
        .size:           8
        .value_kind:     global_buffer
      - .offset:         56
        .size:           4
        .value_kind:     by_value
      - .actual_access:  read_only
        .address_space:  global
        .offset:         64
        .size:           8
        .value_kind:     global_buffer
      - .actual_access:  read_only
        .address_space:  global
        .offset:         72
        .size:           8
        .value_kind:     global_buffer
      - .address_space:  global
        .offset:         80
        .size:           8
        .value_kind:     global_buffer
    .group_segment_fixed_size: 0
    .kernarg_segment_align: 8
    .kernarg_segment_size: 88
    .language:       OpenCL C
    .language_version:
      - 2
      - 0
    .max_flat_workgroup_size: 204
    .name:           fft_rtc_fwd_len884_factors_13_4_17_wgs_204_tpt_68_halfLds_sp_ip_CI_sbrr_dirReg
    .private_segment_fixed_size: 0
    .sgpr_count:     25
    .sgpr_spill_count: 0
    .symbol:         fft_rtc_fwd_len884_factors_13_4_17_wgs_204_tpt_68_halfLds_sp_ip_CI_sbrr_dirReg.kd
    .uniform_work_group_size: 1
    .uses_dynamic_stack: false
    .vgpr_count:     166
    .vgpr_spill_count: 0
    .wavefront_size: 32
    .workgroup_processor_mode: 1
amdhsa.target:   amdgcn-amd-amdhsa--gfx1100
amdhsa.version:
  - 1
  - 2
...

	.end_amdgpu_metadata
